;; amdgpu-corpus repo=ROCm/rocFFT kind=compiled arch=gfx1030 opt=O3
	.text
	.amdgcn_target "amdgcn-amd-amdhsa--gfx1030"
	.amdhsa_code_object_version 6
	.protected	fft_rtc_fwd_len4000_factors_10_10_10_4_wgs_200_tpt_200_halfLds_half_op_CI_CI_unitstride_sbrr_R2C_dirReg ; -- Begin function fft_rtc_fwd_len4000_factors_10_10_10_4_wgs_200_tpt_200_halfLds_half_op_CI_CI_unitstride_sbrr_R2C_dirReg
	.globl	fft_rtc_fwd_len4000_factors_10_10_10_4_wgs_200_tpt_200_halfLds_half_op_CI_CI_unitstride_sbrr_R2C_dirReg
	.p2align	8
	.type	fft_rtc_fwd_len4000_factors_10_10_10_4_wgs_200_tpt_200_halfLds_half_op_CI_CI_unitstride_sbrr_R2C_dirReg,@function
fft_rtc_fwd_len4000_factors_10_10_10_4_wgs_200_tpt_200_halfLds_half_op_CI_CI_unitstride_sbrr_R2C_dirReg: ; @fft_rtc_fwd_len4000_factors_10_10_10_4_wgs_200_tpt_200_halfLds_half_op_CI_CI_unitstride_sbrr_R2C_dirReg
; %bb.0:
	s_clause 0x2
	s_load_dwordx4 s[12:15], s[4:5], 0x0
	s_load_dwordx4 s[8:11], s[4:5], 0x58
	;; [unrolled: 1-line block ×3, first 2 shown]
	v_mul_u32_u24_e32 v1, 0x148, v0
	v_mov_b32_e32 v3, 0
	v_add_nc_u32_sdwa v5, s6, v1 dst_sel:DWORD dst_unused:UNUSED_PAD src0_sel:DWORD src1_sel:WORD_1
	v_mov_b32_e32 v1, 0
	v_mov_b32_e32 v6, v3
	v_mov_b32_e32 v2, 0
	s_waitcnt lgkmcnt(0)
	v_cmp_lt_u64_e64 s0, s[14:15], 2
	s_and_b32 vcc_lo, exec_lo, s0
	s_cbranch_vccnz .LBB0_8
; %bb.1:
	s_load_dwordx2 s[0:1], s[4:5], 0x10
	v_mov_b32_e32 v1, 0
	v_mov_b32_e32 v2, 0
	s_add_u32 s2, s18, 8
	s_addc_u32 s3, s19, 0
	s_add_u32 s6, s16, 8
	s_addc_u32 s7, s17, 0
	v_mov_b32_e32 v17, v2
	v_mov_b32_e32 v16, v1
	s_mov_b64 s[22:23], 1
	s_waitcnt lgkmcnt(0)
	s_add_u32 s20, s0, 8
	s_addc_u32 s21, s1, 0
.LBB0_2:                                ; =>This Inner Loop Header: Depth=1
	s_load_dwordx2 s[24:25], s[20:21], 0x0
                                        ; implicit-def: $vgpr22_vgpr23
	s_mov_b32 s0, exec_lo
	s_waitcnt lgkmcnt(0)
	v_or_b32_e32 v4, s25, v6
	v_cmpx_ne_u64_e32 0, v[3:4]
	s_xor_b32 s1, exec_lo, s0
	s_cbranch_execz .LBB0_4
; %bb.3:                                ;   in Loop: Header=BB0_2 Depth=1
	v_cvt_f32_u32_e32 v4, s24
	v_cvt_f32_u32_e32 v7, s25
	s_sub_u32 s0, 0, s24
	s_subb_u32 s26, 0, s25
	v_fmac_f32_e32 v4, 0x4f800000, v7
	v_rcp_f32_e32 v4, v4
	v_mul_f32_e32 v4, 0x5f7ffffc, v4
	v_mul_f32_e32 v7, 0x2f800000, v4
	v_trunc_f32_e32 v7, v7
	v_fmac_f32_e32 v4, 0xcf800000, v7
	v_cvt_u32_f32_e32 v7, v7
	v_cvt_u32_f32_e32 v4, v4
	v_mul_lo_u32 v8, s0, v7
	v_mul_hi_u32 v9, s0, v4
	v_mul_lo_u32 v10, s26, v4
	v_add_nc_u32_e32 v8, v9, v8
	v_mul_lo_u32 v9, s0, v4
	v_add_nc_u32_e32 v8, v8, v10
	v_mul_hi_u32 v10, v4, v9
	v_mul_lo_u32 v11, v4, v8
	v_mul_hi_u32 v12, v4, v8
	v_mul_hi_u32 v13, v7, v9
	v_mul_lo_u32 v9, v7, v9
	v_mul_hi_u32 v14, v7, v8
	v_mul_lo_u32 v8, v7, v8
	v_add_co_u32 v10, vcc_lo, v10, v11
	v_add_co_ci_u32_e32 v11, vcc_lo, 0, v12, vcc_lo
	v_add_co_u32 v9, vcc_lo, v10, v9
	v_add_co_ci_u32_e32 v9, vcc_lo, v11, v13, vcc_lo
	v_add_co_ci_u32_e32 v10, vcc_lo, 0, v14, vcc_lo
	v_add_co_u32 v8, vcc_lo, v9, v8
	v_add_co_ci_u32_e32 v9, vcc_lo, 0, v10, vcc_lo
	v_add_co_u32 v4, vcc_lo, v4, v8
	v_add_co_ci_u32_e32 v7, vcc_lo, v7, v9, vcc_lo
	v_mul_hi_u32 v8, s0, v4
	v_mul_lo_u32 v10, s26, v4
	v_mul_lo_u32 v9, s0, v7
	v_add_nc_u32_e32 v8, v8, v9
	v_mul_lo_u32 v9, s0, v4
	v_add_nc_u32_e32 v8, v8, v10
	v_mul_hi_u32 v10, v4, v9
	v_mul_lo_u32 v11, v4, v8
	v_mul_hi_u32 v12, v4, v8
	v_mul_hi_u32 v13, v7, v9
	v_mul_lo_u32 v9, v7, v9
	v_mul_hi_u32 v14, v7, v8
	v_mul_lo_u32 v8, v7, v8
	v_add_co_u32 v10, vcc_lo, v10, v11
	v_add_co_ci_u32_e32 v11, vcc_lo, 0, v12, vcc_lo
	v_add_co_u32 v9, vcc_lo, v10, v9
	v_add_co_ci_u32_e32 v9, vcc_lo, v11, v13, vcc_lo
	v_add_co_ci_u32_e32 v10, vcc_lo, 0, v14, vcc_lo
	v_add_co_u32 v8, vcc_lo, v9, v8
	v_add_co_ci_u32_e32 v9, vcc_lo, 0, v10, vcc_lo
	v_add_co_u32 v4, vcc_lo, v4, v8
	v_add_co_ci_u32_e32 v11, vcc_lo, v7, v9, vcc_lo
	v_mul_hi_u32 v13, v5, v4
	v_mad_u64_u32 v[9:10], null, v6, v4, 0
	v_mad_u64_u32 v[7:8], null, v5, v11, 0
	;; [unrolled: 1-line block ×3, first 2 shown]
	v_add_co_u32 v4, vcc_lo, v13, v7
	v_add_co_ci_u32_e32 v7, vcc_lo, 0, v8, vcc_lo
	v_add_co_u32 v4, vcc_lo, v4, v9
	v_add_co_ci_u32_e32 v4, vcc_lo, v7, v10, vcc_lo
	v_add_co_ci_u32_e32 v7, vcc_lo, 0, v12, vcc_lo
	v_add_co_u32 v4, vcc_lo, v4, v11
	v_add_co_ci_u32_e32 v9, vcc_lo, 0, v7, vcc_lo
	v_mul_lo_u32 v10, s25, v4
	v_mad_u64_u32 v[7:8], null, s24, v4, 0
	v_mul_lo_u32 v11, s24, v9
	v_sub_co_u32 v7, vcc_lo, v5, v7
	v_add3_u32 v8, v8, v11, v10
	v_sub_nc_u32_e32 v10, v6, v8
	v_subrev_co_ci_u32_e64 v10, s0, s25, v10, vcc_lo
	v_add_co_u32 v11, s0, v4, 2
	v_add_co_ci_u32_e64 v12, s0, 0, v9, s0
	v_sub_co_u32 v13, s0, v7, s24
	v_sub_co_ci_u32_e32 v8, vcc_lo, v6, v8, vcc_lo
	v_subrev_co_ci_u32_e64 v10, s0, 0, v10, s0
	v_cmp_le_u32_e32 vcc_lo, s24, v13
	v_cmp_eq_u32_e64 s0, s25, v8
	v_cndmask_b32_e64 v13, 0, -1, vcc_lo
	v_cmp_le_u32_e32 vcc_lo, s25, v10
	v_cndmask_b32_e64 v14, 0, -1, vcc_lo
	v_cmp_le_u32_e32 vcc_lo, s24, v7
	;; [unrolled: 2-line block ×3, first 2 shown]
	v_cndmask_b32_e64 v15, 0, -1, vcc_lo
	v_cmp_eq_u32_e32 vcc_lo, s25, v10
	v_cndmask_b32_e64 v7, v15, v7, s0
	v_cndmask_b32_e32 v10, v14, v13, vcc_lo
	v_add_co_u32 v13, vcc_lo, v4, 1
	v_add_co_ci_u32_e32 v14, vcc_lo, 0, v9, vcc_lo
	v_cmp_ne_u32_e32 vcc_lo, 0, v10
	v_cndmask_b32_e32 v8, v14, v12, vcc_lo
	v_cndmask_b32_e32 v10, v13, v11, vcc_lo
	v_cmp_ne_u32_e32 vcc_lo, 0, v7
	v_cndmask_b32_e32 v23, v9, v8, vcc_lo
	v_cndmask_b32_e32 v22, v4, v10, vcc_lo
.LBB0_4:                                ;   in Loop: Header=BB0_2 Depth=1
	s_andn2_saveexec_b32 s0, s1
	s_cbranch_execz .LBB0_6
; %bb.5:                                ;   in Loop: Header=BB0_2 Depth=1
	v_cvt_f32_u32_e32 v4, s24
	s_sub_i32 s1, 0, s24
	v_mov_b32_e32 v23, v3
	v_rcp_iflag_f32_e32 v4, v4
	v_mul_f32_e32 v4, 0x4f7ffffe, v4
	v_cvt_u32_f32_e32 v4, v4
	v_mul_lo_u32 v7, s1, v4
	v_mul_hi_u32 v7, v4, v7
	v_add_nc_u32_e32 v4, v4, v7
	v_mul_hi_u32 v4, v5, v4
	v_mul_lo_u32 v7, v4, s24
	v_add_nc_u32_e32 v8, 1, v4
	v_sub_nc_u32_e32 v7, v5, v7
	v_subrev_nc_u32_e32 v9, s24, v7
	v_cmp_le_u32_e32 vcc_lo, s24, v7
	v_cndmask_b32_e32 v7, v7, v9, vcc_lo
	v_cndmask_b32_e32 v4, v4, v8, vcc_lo
	v_cmp_le_u32_e32 vcc_lo, s24, v7
	v_add_nc_u32_e32 v8, 1, v4
	v_cndmask_b32_e32 v22, v4, v8, vcc_lo
.LBB0_6:                                ;   in Loop: Header=BB0_2 Depth=1
	s_or_b32 exec_lo, exec_lo, s0
	v_mul_lo_u32 v4, v23, s24
	v_mul_lo_u32 v9, v22, s25
	s_load_dwordx2 s[0:1], s[6:7], 0x0
	v_mad_u64_u32 v[7:8], null, v22, s24, 0
	s_load_dwordx2 s[24:25], s[2:3], 0x0
	s_add_u32 s22, s22, 1
	s_addc_u32 s23, s23, 0
	s_add_u32 s2, s2, 8
	s_addc_u32 s3, s3, 0
	s_add_u32 s6, s6, 8
	v_add3_u32 v4, v8, v9, v4
	v_sub_co_u32 v5, vcc_lo, v5, v7
	s_addc_u32 s7, s7, 0
	s_add_u32 s20, s20, 8
	v_sub_co_ci_u32_e32 v4, vcc_lo, v6, v4, vcc_lo
	s_addc_u32 s21, s21, 0
	s_waitcnt lgkmcnt(0)
	v_mul_lo_u32 v6, s0, v4
	v_mul_lo_u32 v7, s1, v5
	v_mad_u64_u32 v[1:2], null, s0, v5, v[1:2]
	v_mul_lo_u32 v4, s24, v4
	v_mul_lo_u32 v8, s25, v5
	v_mad_u64_u32 v[16:17], null, s24, v5, v[16:17]
	v_cmp_ge_u64_e64 s0, s[22:23], s[14:15]
	v_add3_u32 v2, v7, v2, v6
	v_add3_u32 v17, v8, v17, v4
	s_and_b32 vcc_lo, exec_lo, s0
	s_cbranch_vccnz .LBB0_9
; %bb.7:                                ;   in Loop: Header=BB0_2 Depth=1
	v_mov_b32_e32 v5, v22
	v_mov_b32_e32 v6, v23
	s_branch .LBB0_2
.LBB0_8:
	v_mov_b32_e32 v17, v2
	v_mov_b32_e32 v23, v6
	;; [unrolled: 1-line block ×4, first 2 shown]
.LBB0_9:
	s_load_dwordx2 s[0:1], s[4:5], 0x28
	v_mul_hi_u32 v3, 0x147ae15, v0
	s_lshl_b64 s[4:5], s[14:15], 3
                                        ; implicit-def: $vgpr18
                                        ; implicit-def: $vgpr20
                                        ; implicit-def: $vgpr26
                                        ; implicit-def: $vgpr24
                                        ; implicit-def: $vgpr25
	s_add_u32 s2, s18, s4
	s_addc_u32 s3, s19, s5
	s_waitcnt lgkmcnt(0)
	v_cmp_gt_u64_e32 vcc_lo, s[0:1], v[22:23]
	v_cmp_le_u64_e64 s0, s[0:1], v[22:23]
	s_and_saveexec_b32 s1, s0
	s_xor_b32 s0, exec_lo, s1
; %bb.10:
	v_mul_u32_u24_e32 v1, 0xc8, v3
                                        ; implicit-def: $vgpr3
	v_sub_nc_u32_e32 v18, v0, v1
                                        ; implicit-def: $vgpr0
                                        ; implicit-def: $vgpr1_vgpr2
	v_add_nc_u32_e32 v20, 0xc8, v18
	v_add_nc_u32_e32 v26, 0x190, v18
	;; [unrolled: 1-line block ×4, first 2 shown]
; %bb.11:
	s_andn2_saveexec_b32 s1, s0
	s_cbranch_execz .LBB0_13
; %bb.12:
	s_add_u32 s4, s16, s4
	s_addc_u32 s5, s17, s5
	v_lshlrev_b64 v[1:2], 2, v[1:2]
	s_load_dwordx2 s[4:5], s[4:5], 0x0
	s_waitcnt lgkmcnt(0)
	v_mul_lo_u32 v6, s5, v22
	v_mul_lo_u32 v7, s4, v23
	v_mad_u64_u32 v[4:5], null, s4, v22, 0
	v_add3_u32 v5, v5, v7, v6
	v_mul_u32_u24_e32 v6, 0xc8, v3
	v_lshlrev_b64 v[3:4], 2, v[4:5]
	v_sub_nc_u32_e32 v18, v0, v6
	v_lshlrev_b32_e32 v19, 2, v18
	v_add_co_u32 v0, s0, s8, v3
	v_add_co_ci_u32_e64 v3, s0, s9, v4, s0
	v_add_nc_u32_e32 v20, 0xc8, v18
	v_add_co_u32 v0, s0, v0, v1
	v_add_co_ci_u32_e64 v1, s0, v3, v2, s0
	v_add_nc_u32_e32 v26, 0x190, v18
	v_add_co_u32 v0, s0, v0, v19
	v_add_co_ci_u32_e64 v1, s0, 0, v1, s0
	v_add_nc_u32_e32 v25, 0x258, v18
	v_add_co_u32 v2, s0, 0x800, v0
	v_add_co_ci_u32_e64 v3, s0, 0, v1, s0
	v_add_co_u32 v4, s0, 0x1000, v0
	v_add_co_ci_u32_e64 v5, s0, 0, v1, s0
	;; [unrolled: 2-line block ×7, first 2 shown]
	s_clause 0x13
	global_load_dword v21, v[0:1], off
	global_load_dword v27, v[0:1], off offset:800
	global_load_dword v0, v[0:1], off offset:1600
	global_load_dword v1, v[2:3], off offset:352
	global_load_dword v28, v[2:3], off offset:1152
	global_load_dword v2, v[2:3], off offset:1952
	global_load_dword v3, v[4:5], off offset:704
	global_load_dword v4, v[4:5], off offset:1504
	global_load_dword v5, v[6:7], off offset:256
	global_load_dword v29, v[6:7], off offset:1056
	global_load_dword v6, v[6:7], off offset:1856
	global_load_dword v7, v[8:9], off offset:608
	global_load_dword v8, v[8:9], off offset:1408
	global_load_dword v9, v[10:11], off offset:160
	global_load_dword v30, v[10:11], off offset:960
	global_load_dword v10, v[10:11], off offset:1760
	global_load_dword v11, v[12:13], off offset:512
	global_load_dword v12, v[12:13], off offset:1312
	global_load_dword v13, v[14:15], off offset:64
	global_load_dword v14, v[14:15], off offset:864
	v_add_nc_u32_e32 v15, 0, v19
	v_add_nc_u32_e32 v24, 0x320, v18
	;; [unrolled: 1-line block ×11, first 2 shown]
	s_waitcnt vmcnt(18)
	ds_write2_b32 v15, v21, v27 offset1:200
	s_waitcnt vmcnt(16)
	ds_write2_b32 v19, v0, v1 offset0:16 offset1:216
	s_waitcnt vmcnt(14)
	ds_write2_b32 v31, v28, v2 offset0:32 offset1:232
	;; [unrolled: 2-line block ×3, first 2 shown]
	s_waitcnt vmcnt(10)
	ds_write2_b32 v33, v5, v29 offset1:200
	s_waitcnt vmcnt(8)
	ds_write2_b32 v34, v6, v7 offset0:16 offset1:216
	s_waitcnt vmcnt(6)
	ds_write2_b32 v35, v8, v9 offset0:32 offset1:232
	;; [unrolled: 2-line block ×3, first 2 shown]
	s_waitcnt vmcnt(2)
	ds_write2_b32 v37, v11, v12 offset1:200
	s_waitcnt vmcnt(0)
	ds_write2_b32 v38, v13, v14 offset0:16 offset1:216
.LBB0_13:
	s_or_b32 exec_lo, exec_lo, s1
	v_lshlrev_b32_e32 v19, 2, v18
	s_load_dwordx2 s[2:3], s[2:3], 0x0
	s_waitcnt lgkmcnt(0)
	s_barrier
	buffer_gl0_inv
	v_add_nc_u32_e32 v33, 0, v19
	v_mul_i32_i24_e32 v54, 10, v20
	v_mov_b32_e32 v82, 0x190
	v_cmp_gt_u32_e64 s0, 0x64, v18
	s_add_u32 s1, s12, 0x3e58
	v_add_nc_u32_e32 v0, 0xc00, v33
	v_add_nc_u32_e32 v1, 0x1900, v33
	;; [unrolled: 1-line block ×4, first 2 shown]
	ds_read2_b32 v[5:6], v33 offset1:200
	ds_read2_b32 v[7:8], v0 offset0:32 offset1:232
	ds_read2_b32 v[9:10], v1 offset1:200
	ds_read2_b32 v[11:12], v2 offset0:32 offset1:232
	ds_read2_b32 v[13:14], v3 offset1:200
	v_add_nc_u32_e32 v0, 0x600, v33
	v_add_nc_u32_e32 v1, 0x1200, v33
	;; [unrolled: 1-line block ×5, first 2 shown]
	ds_read2_b32 v[27:28], v0 offset0:16 offset1:216
	ds_read2_b32 v[29:30], v1 offset0:48 offset1:248
	;; [unrolled: 1-line block ×5, first 2 shown]
	v_mad_u32_u24 v4, v18, 36, v33
	s_waitcnt lgkmcnt(0)
	s_barrier
	buffer_gl0_inv
	s_addc_u32 s4, s13, 0
	s_mov_b32 s5, exec_lo
	v_lshrrev_b32_e32 v15, 16, v6
	v_pk_add_f16 v41, v6, v8
	v_sub_f16_e32 v37, v8, v10
	v_add_f16_e32 v21, v10, v12
	v_add_f16_e32 v38, v8, v14
	v_sub_f16_sdwa v34, v8, v14 dst_sel:DWORD dst_unused:UNUSED_PAD src0_sel:WORD_1 src1_sel:WORD_1
	v_sub_f16_sdwa v35, v10, v12 dst_sel:DWORD dst_unused:UNUSED_PAD src0_sel:WORD_1 src1_sel:WORD_1
	v_sub_f16_e32 v36, v14, v12
	v_sub_f16_e32 v39, v12, v14
	;; [unrolled: 1-line block ×3, first 2 shown]
	v_fma_f16 v21, -0.5, v21, v6
	v_fma_f16 v6, -0.5, v38, v6
	v_add_f16_sdwa v42, v10, v12 dst_sel:DWORD dst_unused:UNUSED_PAD src0_sel:WORD_1 src1_sel:WORD_1
	v_add_f16_e32 v36, v37, v36
	v_add_f16_e32 v37, v40, v39
	v_fmamk_f16 v38, v34, 0x3b9c, v21
	v_fmac_f16_e32 v21, 0xbb9c, v34
	v_fmamk_f16 v39, v35, 0xbb9c, v6
	v_fmac_f16_e32 v6, 0x3b9c, v35
	v_sub_f16_e32 v43, v8, v14
	v_fma_f16 v40, -0.5, v42, v15
	v_fmac_f16_e32 v38, 0x38b4, v35
	v_fmac_f16_e32 v21, 0xb8b4, v35
	;; [unrolled: 1-line block ×4, first 2 shown]
	v_fmamk_f16 v34, v43, 0xbb9c, v40
	v_fmac_f16_e32 v38, 0x34f2, v36
	v_fmac_f16_e32 v21, 0x34f2, v36
	;; [unrolled: 1-line block ×4, first 2 shown]
	v_sub_f16_e32 v35, v10, v12
	v_sub_f16_sdwa v36, v8, v10 dst_sel:DWORD dst_unused:UNUSED_PAD src0_sel:WORD_1 src1_sel:WORD_1
	v_add_f16_sdwa v37, v8, v14 dst_sel:DWORD dst_unused:UNUSED_PAD src0_sel:WORD_1 src1_sel:WORD_1
	v_sub_f16_sdwa v42, v14, v12 dst_sel:DWORD dst_unused:UNUSED_PAD src0_sel:WORD_1 src1_sel:WORD_1
	v_fmac_f16_e32 v40, 0x3b9c, v43
	v_pk_add_f16 v41, v41, v10
	v_fmac_f16_e32 v34, 0xb8b4, v35
	v_fmac_f16_e32 v15, -0.5, v37
	v_add_f16_e32 v36, v36, v42
	v_fmac_f16_e32 v40, 0x38b4, v35
	v_add_f16_e32 v37, v32, v3
	v_sub_f16_sdwa v8, v10, v8 dst_sel:DWORD dst_unused:UNUSED_PAD src0_sel:WORD_1 src1_sel:WORD_1
	v_sub_f16_sdwa v10, v12, v14 dst_sel:DWORD dst_unused:UNUSED_PAD src0_sel:WORD_1 src1_sel:WORD_1
	v_fmamk_f16 v42, v35, 0x3b9c, v15
	v_fmac_f16_e32 v34, 0x34f2, v36
	v_fmac_f16_e32 v40, 0x34f2, v36
	v_fma_f16 v36, -0.5, v37, v28
	v_sub_f16_sdwa v37, v30, v1 dst_sel:DWORD dst_unused:UNUSED_PAD src0_sel:WORD_1 src1_sel:WORD_1
	v_fmac_f16_e32 v15, 0xbb9c, v35
	v_sub_f16_e32 v44, v1, v3
	v_sub_f16_e32 v45, v30, v32
	v_add_f16_e32 v8, v8, v10
	v_add_f16_e32 v10, v30, v1
	v_pk_add_f16 v41, v41, v12
	v_fmac_f16_e32 v42, 0xb8b4, v43
	v_fmamk_f16 v12, v37, 0x3b9c, v36
	v_sub_f16_sdwa v35, v32, v3 dst_sel:DWORD dst_unused:UNUSED_PAD src0_sel:WORD_1 src1_sel:WORD_1
	v_fmac_f16_e32 v15, 0x38b4, v43
	v_add_f16_e32 v43, v45, v44
	v_fmac_f16_e32 v36, 0xbb9c, v37
	v_fma_f16 v10, -0.5, v10, v28
	v_add_f16_sdwa v44, v32, v3 dst_sel:DWORD dst_unused:UNUSED_PAD src0_sel:WORD_1 src1_sel:WORD_1
	v_lshrrev_b32_e32 v45, 16, v28
	v_add_f16_sdwa v48, v30, v1 dst_sel:DWORD dst_unused:UNUSED_PAD src0_sel:WORD_1 src1_sel:WORD_1
	v_fmac_f16_e32 v12, 0x38b4, v35
	v_fmac_f16_e32 v42, 0x34f2, v8
	;; [unrolled: 1-line block ×4, first 2 shown]
	v_fmamk_f16 v8, v35, 0xbb9c, v10
	v_sub_f16_e32 v46, v3, v1
	v_sub_f16_e32 v47, v32, v30
	v_fmac_f16_e32 v10, 0x3b9c, v35
	v_fma_f16 v35, -0.5, v44, v45
	v_sub_f16_e32 v49, v32, v3
	v_fmac_f16_e32 v45, -0.5, v48
	v_sub_f16_e32 v44, v30, v1
	v_add_f16_e32 v46, v47, v46
	v_sub_f16_sdwa v48, v32, v30 dst_sel:DWORD dst_unused:UNUSED_PAD src0_sel:WORD_1 src1_sel:WORD_1
	v_sub_f16_sdwa v50, v3, v1 dst_sel:DWORD dst_unused:UNUSED_PAD src0_sel:WORD_1 src1_sel:WORD_1
	v_fmamk_f16 v47, v49, 0x3b9c, v45
	v_fmac_f16_e32 v8, 0x38b4, v37
	v_fmac_f16_e32 v10, 0xb8b4, v37
	v_fmamk_f16 v37, v44, 0xbb9c, v35
	v_sub_f16_sdwa v51, v30, v32 dst_sel:DWORD dst_unused:UNUSED_PAD src0_sel:WORD_1 src1_sel:WORD_1
	v_sub_f16_sdwa v52, v1, v3 dst_sel:DWORD dst_unused:UNUSED_PAD src0_sel:WORD_1 src1_sel:WORD_1
	v_fmac_f16_e32 v47, 0xb8b4, v44
	v_add_f16_e32 v48, v48, v50
	v_fmac_f16_e32 v45, 0xbb9c, v49
	v_fmac_f16_e32 v12, 0x34f2, v43
	;; [unrolled: 1-line block ×3, first 2 shown]
	v_add_f16_e32 v50, v51, v52
	v_fmac_f16_e32 v10, 0x34f2, v46
	v_fmac_f16_e32 v47, 0x34f2, v48
	;; [unrolled: 1-line block ×6, first 2 shown]
	v_mul_f16_e32 v44, 0x3a79, v12
	v_mul_f16_e32 v46, 0x3b9c, v47
	v_fmac_f16_e32 v45, 0x34f2, v48
	v_mul_f16_e32 v48, 0x34f2, v10
	v_fmac_f16_e32 v35, 0x38b4, v49
	v_fmac_f16_e32 v36, 0x34f2, v43
	;; [unrolled: 1-line block ×4, first 2 shown]
	v_fma_f16 v43, v45, 0x3b9c, -v48
	v_fmac_f16_e32 v35, 0x34f2, v50
	v_mul_f16_e32 v50, 0x3a79, v36
	v_mul_f16_e32 v12, 0xb8b4, v12
	;; [unrolled: 1-line block ×4, first 2 shown]
	v_add_f16_e32 v52, v9, v11
	v_add_f16_e32 v48, v38, v44
	;; [unrolled: 1-line block ×3, first 2 shown]
	v_fma_f16 v50, v35, 0x38b4, -v50
	v_mul_f16_e32 v35, 0x3a79, v35
	v_fmac_f16_e32 v12, 0x3a79, v37
	v_fmac_f16_e32 v8, 0x34f2, v47
	v_fma_f16 v10, v10, 0xbb9c, -v45
	v_sub_f16_e32 v38, v38, v44
	v_sub_f16_e32 v6, v6, v43
	v_fma_f16 v43, -0.5, v52, v5
	v_sub_f16_sdwa v44, v7, v13 dst_sel:DWORD dst_unused:UNUSED_PAD src0_sel:WORD_1 src1_sel:WORD_1
	v_add_f16_e32 v49, v39, v46
	v_add_f16_e32 v37, v21, v50
	v_fma_f16 v35, v36, 0xb8b4, -v35
	v_add_f16_e32 v36, v34, v12
	v_add_f16_e32 v45, v42, v8
	;; [unrolled: 1-line block ×3, first 2 shown]
	v_sub_f16_e32 v39, v39, v46
	v_sub_f16_e32 v21, v21, v50
	;; [unrolled: 1-line block ×5, first 2 shown]
	v_fmamk_f16 v15, v44, 0x3b9c, v43
	v_add_f16_e32 v34, v7, v13
	v_sub_f16_sdwa v42, v9, v11 dst_sel:DWORD dst_unused:UNUSED_PAD src0_sel:WORD_1 src1_sel:WORD_1
	v_sub_f16_e32 v46, v13, v11
	v_sub_f16_e32 v50, v7, v9
	v_fmac_f16_e32 v43, 0xbb9c, v44
	v_fma_f16 v52, -0.5, v34, v5
	v_fmac_f16_e32 v15, 0x38b4, v42
	v_add_f16_e32 v53, v40, v35
	v_add_f16_e32 v34, v50, v46
	v_fmac_f16_e32 v43, 0xb8b4, v42
	v_sub_f16_e32 v46, v11, v13
	v_sub_f16_e32 v50, v9, v7
	;; [unrolled: 1-line block ×3, first 2 shown]
	v_fmamk_f16 v40, v42, 0xbb9c, v52
	v_pk_add_f16 v28, v28, v30
	v_fmac_f16_e32 v15, 0x34f2, v34
	v_fmac_f16_e32 v43, 0x34f2, v34
	v_add_f16_e32 v30, v50, v46
	v_fmac_f16_e32 v52, 0x3b9c, v42
	v_pk_add_f16 v34, v5, v7
	v_add_f16_sdwa v42, v9, v11 dst_sel:DWORD dst_unused:UNUSED_PAD src0_sel:WORD_1 src1_sel:WORD_1
	v_lshrrev_b32_e32 v5, 16, v5
	v_sub_f16_sdwa v46, v7, v9 dst_sel:DWORD dst_unused:UNUSED_PAD src0_sel:WORD_1 src1_sel:WORD_1
	v_sub_f16_sdwa v50, v13, v11 dst_sel:DWORD dst_unused:UNUSED_PAD src0_sel:WORD_1 src1_sel:WORD_1
	v_fmac_f16_e32 v40, 0x38b4, v44
	v_fmac_f16_e32 v52, 0xb8b4, v44
	v_pk_add_f16 v34, v34, v9
	v_fma_f16 v42, -0.5, v42, v5
	v_sub_f16_e32 v44, v7, v13
	v_add_f16_e32 v46, v46, v50
	v_sub_f16_e32 v50, v9, v11
	v_sub_f16_sdwa v9, v9, v7 dst_sel:DWORD dst_unused:UNUSED_PAD src0_sel:WORD_1 src1_sel:WORD_1
	v_add_f16_sdwa v7, v7, v13 dst_sel:DWORD dst_unused:UNUSED_PAD src0_sel:WORD_1 src1_sel:WORD_1
	v_fmamk_f16 v55, v44, 0xbb9c, v42
	v_pk_add_f16 v28, v28, v32
	v_pk_add_f16 v32, v34, v11
	v_fmac_f16_e32 v42, 0x3b9c, v44
	v_fmac_f16_e32 v5, -0.5, v7
	v_fmac_f16_e32 v40, 0x34f2, v30
	v_fmac_f16_e32 v55, 0xb8b4, v50
	;; [unrolled: 1-line block ×3, first 2 shown]
	v_pk_add_f16 v7, v32, v13
	v_add_f16_e32 v30, v31, v2
	v_fmac_f16_e32 v42, 0x38b4, v50
	v_fmamk_f16 v32, v50, 0x3b9c, v5
	v_sub_f16_sdwa v11, v11, v13 dst_sel:DWORD dst_unused:UNUSED_PAD src0_sel:WORD_1 src1_sel:WORD_1
	v_fmac_f16_e32 v5, 0xbb9c, v50
	v_add_f16_e32 v34, v29, v0
	v_pk_add_f16 v14, v41, v14
	v_fmac_f16_e32 v55, 0x34f2, v46
	v_fma_f16 v13, -0.5, v30, v27
	v_sub_f16_sdwa v30, v29, v0 dst_sel:DWORD dst_unused:UNUSED_PAD src0_sel:WORD_1 src1_sel:WORD_1
	v_fmac_f16_e32 v42, 0x34f2, v46
	v_fmac_f16_e32 v32, 0xb8b4, v44
	v_add_f16_e32 v9, v9, v11
	v_fmac_f16_e32 v5, 0x38b4, v44
	v_sub_f16_sdwa v41, v31, v2 dst_sel:DWORD dst_unused:UNUSED_PAD src0_sel:WORD_1 src1_sel:WORD_1
	v_sub_f16_e32 v44, v0, v2
	v_sub_f16_e32 v46, v29, v31
	v_fma_f16 v50, -0.5, v34, v27
	v_fmamk_f16 v11, v30, 0x3b9c, v13
	v_fmac_f16_e32 v32, 0x34f2, v9
	v_fmac_f16_e32 v5, 0x34f2, v9
	v_add_f16_e32 v9, v46, v44
	v_fmac_f16_e32 v13, 0xbb9c, v30
	v_fmamk_f16 v44, v41, 0xbb9c, v50
	v_sub_f16_e32 v34, v2, v0
	v_sub_f16_e32 v46, v31, v29
	v_fmac_f16_e32 v50, 0x3b9c, v41
	v_fmac_f16_e32 v11, 0x38b4, v41
	v_fmac_f16_e32 v13, 0xb8b4, v41
	v_fmac_f16_e32 v44, 0x38b4, v30
	v_add_f16_e32 v34, v46, v34
	v_fmac_f16_e32 v50, 0xb8b4, v30
	v_fmac_f16_e32 v11, 0x34f2, v9
	v_fmac_f16_e32 v13, 0x34f2, v9
	v_add_f16_sdwa v9, v31, v2 dst_sel:DWORD dst_unused:UNUSED_PAD src0_sel:WORD_1 src1_sel:WORD_1
	v_lshrrev_b32_e32 v30, 16, v27
	v_fmac_f16_e32 v44, 0x34f2, v34
	v_fmac_f16_e32 v50, 0x34f2, v34
	v_add_f16_sdwa v34, v29, v0 dst_sel:DWORD dst_unused:UNUSED_PAD src0_sel:WORD_1 src1_sel:WORD_1
	v_sub_f16_sdwa v46, v29, v31 dst_sel:DWORD dst_unused:UNUSED_PAD src0_sel:WORD_1 src1_sel:WORD_1
	v_fma_f16 v9, -0.5, v9, v30
	v_sub_f16_sdwa v56, v0, v2 dst_sel:DWORD dst_unused:UNUSED_PAD src0_sel:WORD_1 src1_sel:WORD_1
	v_sub_f16_e32 v57, v31, v2
	v_fmac_f16_e32 v30, -0.5, v34
	v_pk_add_f16 v27, v27, v29
	v_sub_f16_e32 v41, v29, v0
	v_sub_f16_sdwa v29, v31, v29 dst_sel:DWORD dst_unused:UNUSED_PAD src0_sel:WORD_1 src1_sel:WORD_1
	v_sub_f16_sdwa v34, v2, v0 dst_sel:DWORD dst_unused:UNUSED_PAD src0_sel:WORD_1 src1_sel:WORD_1
	v_pk_add_f16 v3, v28, v3
	v_add_f16_e32 v28, v46, v56
	v_fmamk_f16 v56, v57, 0x3b9c, v30
	v_fmac_f16_e32 v30, 0xbb9c, v57
	v_add_f16_e32 v29, v29, v34
	v_fmamk_f16 v46, v41, 0xbb9c, v9
	v_fmac_f16_e32 v9, 0x3b9c, v41
	v_fmac_f16_e32 v56, 0xb8b4, v41
	;; [unrolled: 1-line block ×3, first 2 shown]
	v_pk_add_f16 v27, v27, v31
	v_fmac_f16_e32 v46, 0xb8b4, v57
	v_mul_f16_e32 v41, 0x34f2, v50
	v_fmac_f16_e32 v56, 0x34f2, v29
	v_fmac_f16_e32 v30, 0x34f2, v29
	;; [unrolled: 1-line block ×4, first 2 shown]
	v_mul_f16_e32 v29, 0x3a79, v11
	v_mul_f16_e32 v31, 0x3b9c, v56
	;; [unrolled: 1-line block ×3, first 2 shown]
	v_pk_add_f16 v2, v27, v2
	v_fma_f16 v27, v30, 0x3b9c, -v41
	v_mul_f16_e32 v30, 0x34f2, v30
	v_fmac_f16_e32 v31, 0x34f2, v44
	v_mul_f16_e32 v44, 0xbb9c, v44
	v_fmac_f16_e32 v9, 0x34f2, v28
	v_fmac_f16_e32 v29, 0x38b4, v46
	v_mul_f16_e32 v28, 0x3a79, v13
	v_fmac_f16_e32 v11, 0x3a79, v46
	v_fmac_f16_e32 v44, 0x34f2, v56
	v_fma_f16 v30, v50, 0xbb9c, -v30
	v_pk_add_f16 v0, v2, v0
	v_add_f16_e32 v2, v15, v29
	v_fma_f16 v28, v9, 0x38b4, -v28
	v_mul_f16_e32 v9, 0x3a79, v9
	v_add_f16_e32 v46, v55, v11
	v_lshl_add_u32 v34, v54, 2, 0
	v_add_f16_e32 v41, v40, v31
	v_add_f16_e32 v54, v52, v27
	;; [unrolled: 1-line block ×4, first 2 shown]
	v_fma_f16 v9, v13, 0xb8b4, -v9
	v_pk_add_f16 v13, v7, v0
	v_pack_b32_f16 v2, v2, v46
	v_sub_f16_e32 v15, v15, v29
	v_sub_f16_e32 v29, v40, v31
	;; [unrolled: 1-line block ×4, first 2 shown]
	v_pack_b32_f16 v30, v54, v56
	v_pack_b32_f16 v32, v41, v50
	v_add_f16_e32 v57, v43, v28
	v_add_f16_e32 v58, v42, v9
	ds_write2_b32 v4, v13, v2 offset1:1
	ds_write2_b32 v4, v32, v30 offset0:2 offset1:3
	v_and_b32_e32 v2, 0xff, v18
	v_sub_f16_e32 v11, v55, v11
	v_pk_add_f16 v0, v7, v0 neg_lo:[0,1] neg_hi:[0,1]
	v_pack_b32_f16 v7, v57, v58
	v_sub_f16_e32 v27, v52, v27
	v_mul_lo_u16 v2, 0xcd, v2
	v_sub_f16_e32 v28, v43, v28
	v_sub_f16_e32 v9, v42, v9
	v_pk_add_f16 v1, v3, v1
	ds_write2_b32 v4, v7, v0 offset0:4 offset1:5
	v_pack_b32_f16 v0, v15, v11
	v_pack_b32_f16 v7, v29, v31
	v_lshrrev_b16 v44, 11, v2
	v_mov_b32_e32 v2, 0xcccd
	v_pack_b32_f16 v9, v28, v9
	v_pack_b32_f16 v5, v27, v5
	v_pk_add_f16 v3, v14, v1
	v_pack_b32_f16 v11, v48, v36
	v_pack_b32_f16 v13, v51, v47
	;; [unrolled: 1-line block ×3, first 2 shown]
	ds_write2_b32 v4, v0, v7 offset0:6 offset1:7
	ds_write2_b32 v4, v5, v9 offset0:8 offset1:9
	ds_write2_b32 v34, v3, v11 offset1:1
	ds_write2_b32 v34, v15, v13 offset0:2 offset1:3
	v_mul_u32_u24_sdwa v0, v20, v2 dst_sel:DWORD dst_unused:UNUSED_PAD src0_sel:WORD_0 src1_sel:DWORD
	v_mul_lo_u16 v2, v44, 10
	v_mov_b32_e32 v31, 9
	v_pk_add_f16 v1, v14, v1 neg_lo:[0,1] neg_hi:[0,1]
	v_pack_b32_f16 v3, v37, v53
	v_lshrrev_b32_e32 v32, 19, v0
	v_sub_nc_u16 v46, v18, v2
	v_pack_b32_f16 v4, v38, v12
	v_pack_b32_f16 v0, v39, v8
	ds_write2_b32 v34, v3, v1 offset0:4 offset1:5
	ds_write2_b32 v34, v4, v0 offset0:6 offset1:7
	v_mul_lo_u16 v5, v32, 10
	v_mul_u32_u24_sdwa v7, v46, v31 dst_sel:DWORD dst_unused:UNUSED_PAD src0_sel:BYTE_0 src1_sel:DWORD
	v_pack_b32_f16 v2, v21, v35
	v_pack_b32_f16 v6, v6, v10
	v_lshl_add_u32 v36, v26, 2, 0
	v_sub_nc_u16 v45, v20, v5
	v_lshlrev_b32_e32 v21, 2, v7
	v_add_nc_u32_e32 v37, 0x1580, v33
	ds_write2_b32 v34, v6, v2 offset0:8 offset1:9
	s_waitcnt lgkmcnt(0)
	v_mul_u32_u24_sdwa v0, v45, v31 dst_sel:DWORD dst_unused:UNUSED_PAD src0_sel:WORD_0 src1_sel:DWORD
	s_barrier
	buffer_gl0_inv
	global_load_dwordx4 v[8:11], v21, s[12:13]
	v_lshl_add_u32 v35, v24, 2, 0
	v_lshlrev_b32_e32 v27, 2, v0
	s_clause 0x4
	global_load_dwordx4 v[4:7], v27, s[12:13]
	global_load_dwordx4 v[0:3], v21, s[12:13] offset:16
	global_load_dwordx4 v[12:15], v27, s[12:13] offset:16
	global_load_dword v48, v21, s[12:13] offset:32
	global_load_dword v47, v27, s[12:13] offset:32
	v_add_nc_u32_e32 v38, 0xf00, v33
	ds_read_b32 v49, v36
	ds_read2_b32 v[27:28], v37 offset0:24 offset1:224
	ds_read_b32 v43, v33 offset:2400
	ds_read_b32 v50, v35
	ds_read2_b32 v[29:30], v38 offset0:40 offset1:240
	v_add_nc_u32_e32 v39, 0x1c00, v33
	v_add_nc_u32_e32 v40, 0x2200, v33
	;; [unrolled: 1-line block ×3, first 2 shown]
	v_mad_i32_i24 v41, 0xffffffdc, v20, v34
	ds_read2_b32 v[52:53], v39 offset0:8 offset1:208
	ds_read2_b32 v[54:55], v40 offset0:24 offset1:224
	;; [unrolled: 1-line block ×3, first 2 shown]
	ds_read_b32 v51, v41
	ds_read_b32 v58, v33 offset:15200
	ds_read_b32 v59, v33
	v_add_nc_u32_e32 v42, 0x2e80, v33
	v_mul_u32_u24_sdwa v82, v44, v82 dst_sel:DWORD dst_unused:UNUSED_PAD src0_sel:WORD_0 src1_sel:DWORD
	v_mov_b32_e32 v44, 2
	v_lshlrev_b32_sdwa v46, v44, v46 dst_sel:DWORD dst_unused:UNUSED_PAD src0_sel:DWORD src1_sel:BYTE_0
	s_waitcnt lgkmcnt(10)
	v_lshrrev_b32_e32 v60, 16, v49
	s_waitcnt lgkmcnt(9)
	v_lshrrev_b32_e32 v61, 16, v28
	;; [unrolled: 2-line block ×5, first 2 shown]
	v_lshrrev_b32_e32 v66, 16, v27
	v_lshrrev_b32_e32 v64, 16, v29
	v_add3_u32 v46, 0, v82, v46
	s_waitcnt vmcnt(5)
	v_mul_f16_sdwa v67, v8, v60 dst_sel:DWORD dst_unused:UNUSED_PAD src0_sel:WORD_1 src1_sel:DWORD
	v_mul_f16_sdwa v68, v8, v49 dst_sel:DWORD dst_unused:UNUSED_PAD src0_sel:WORD_1 src1_sel:DWORD
	;; [unrolled: 1-line block ×4, first 2 shown]
	v_mul_f16_sdwa v73, v28, v11 dst_sel:DWORD dst_unused:UNUSED_PAD src0_sel:DWORD src1_sel:WORD_1
	v_mul_f16_sdwa v74, v61, v11 dst_sel:DWORD dst_unused:UNUSED_PAD src0_sel:DWORD src1_sel:WORD_1
	s_waitcnt vmcnt(4)
	v_mul_f16_sdwa v75, v62, v4 dst_sel:DWORD dst_unused:UNUSED_PAD src0_sel:DWORD src1_sel:WORD_1
	v_mul_f16_sdwa v71, v10, v65 dst_sel:DWORD dst_unused:UNUSED_PAD src0_sel:WORD_1 src1_sel:DWORD
	v_mul_f16_sdwa v72, v10, v30 dst_sel:DWORD dst_unused:UNUSED_PAD src0_sel:WORD_1 src1_sel:DWORD
	v_mul_f16_sdwa v77, v66, v6 dst_sel:DWORD dst_unused:UNUSED_PAD src0_sel:DWORD src1_sel:WORD_1
	v_fma_f16 v49, v8, v49, -v67
	v_fmac_f16_e32 v68, v8, v60
	v_fma_f16 v50, v9, v50, -v69
	v_fmac_f16_e32 v70, v9, v63
	v_fmac_f16_e32 v73, v61, v11
	v_fma_f16 v11, v28, v11, -v74
	v_mul_f16_sdwa v28, v43, v4 dst_sel:DWORD dst_unused:UNUSED_PAD src0_sel:DWORD src1_sel:WORD_1
	v_fma_f16 v60, v43, v4, -v75
	ds_read2_b32 v[8:9], v42 offset0:24 offset1:224
	s_waitcnt lgkmcnt(6)
	v_lshrrev_b32_e32 v43, 16, v52
	v_mul_f16_sdwa v76, v64, v5 dst_sel:DWORD dst_unused:UNUSED_PAD src0_sel:DWORD src1_sel:WORD_1
	v_fmac_f16_e32 v72, v10, v65
	v_fma_f16 v10, v10, v30, -v71
	v_mul_f16_sdwa v30, v29, v5 dst_sel:DWORD dst_unused:UNUSED_PAD src0_sel:DWORD src1_sel:WORD_1
	v_fma_f16 v61, v27, v6, -v77
	v_mul_f16_sdwa v27, v27, v6 dst_sel:DWORD dst_unused:UNUSED_PAD src0_sel:DWORD src1_sel:WORD_1
	v_fmac_f16_e32 v28, v62, v4
	v_mul_f16_sdwa v62, v52, v7 dst_sel:DWORD dst_unused:UNUSED_PAD src0_sel:DWORD src1_sel:WORD_1
	v_lshrrev_b32_e32 v4, 16, v53
	v_mul_f16_sdwa v63, v43, v7 dst_sel:DWORD dst_unused:UNUSED_PAD src0_sel:DWORD src1_sel:WORD_1
	v_fma_f16 v29, v29, v5, -v76
	v_fmac_f16_e32 v30, v64, v5
	v_fmac_f16_e32 v27, v66, v6
	;; [unrolled: 1-line block ×3, first 2 shown]
	s_waitcnt vmcnt(3)
	v_mul_f16_sdwa v5, v4, v0 dst_sel:DWORD dst_unused:UNUSED_PAD src0_sel:DWORD src1_sel:WORD_1
	v_fma_f16 v6, v52, v7, -v63
	v_mul_f16_sdwa v7, v53, v0 dst_sel:DWORD dst_unused:UNUSED_PAD src0_sel:DWORD src1_sel:WORD_1
	v_add_nc_u32_e32 v43, 0x3500, v33
	s_waitcnt lgkmcnt(5)
	v_lshrrev_b32_e32 v52, 16, v55
	v_mul_f16_sdwa v63, v55, v1 dst_sel:DWORD dst_unused:UNUSED_PAD src0_sel:DWORD src1_sel:WORD_1
	v_fma_f16 v53, v53, v0, -v5
	s_waitcnt lgkmcnt(4)
	v_lshrrev_b32_e32 v64, 16, v57
	v_fmac_f16_e32 v7, v4, v0
	v_mul_f16_sdwa v0, v57, v2 dst_sel:DWORD dst_unused:UNUSED_PAD src0_sel:DWORD src1_sel:WORD_1
	ds_read2_b32 v[4:5], v43 offset0:8 offset1:208
	v_fmac_f16_e32 v63, v52, v1
	s_waitcnt lgkmcnt(1)
	v_lshrrev_b32_e32 v65, 16, v9
	v_mul_f16_sdwa v66, v9, v3 dst_sel:DWORD dst_unused:UNUSED_PAD src0_sel:DWORD src1_sel:WORD_1
	v_mul_f16_sdwa v52, v52, v1 dst_sel:DWORD dst_unused:UNUSED_PAD src0_sel:DWORD src1_sel:WORD_1
	v_fmac_f16_e32 v0, v64, v2
	v_lshrrev_b32_e32 v67, 16, v54
	v_mul_f16_sdwa v64, v64, v2 dst_sel:DWORD dst_unused:UNUSED_PAD src0_sel:DWORD src1_sel:WORD_1
	v_lshrrev_b32_e32 v69, 16, v56
	v_fmac_f16_e32 v66, v65, v3
	v_mul_f16_sdwa v65, v65, v3 dst_sel:DWORD dst_unused:UNUSED_PAD src0_sel:DWORD src1_sel:WORD_1
	v_fma_f16 v1, v55, v1, -v52
	v_lshrrev_b32_e32 v52, 16, v8
	s_waitcnt vmcnt(2)
	v_mul_f16_sdwa v55, v67, v12 dst_sel:DWORD dst_unused:UNUSED_PAD src0_sel:DWORD src1_sel:WORD_1
	v_fma_f16 v2, v57, v2, -v64
	v_mul_f16_sdwa v57, v69, v13 dst_sel:DWORD dst_unused:UNUSED_PAD src0_sel:DWORD src1_sel:WORD_1
	v_fma_f16 v3, v9, v3, -v65
	;; [unrolled: 2-line block ×5, first 2 shown]
	v_mul_f16_sdwa v8, v8, v14 dst_sel:DWORD dst_unused:UNUSED_PAD src0_sel:DWORD src1_sel:WORD_1
	v_fmac_f16_e32 v54, v67, v12
	s_waitcnt lgkmcnt(0)
	v_lshrrev_b32_e32 v12, 16, v4
	v_fmac_f16_e32 v56, v69, v13
	v_lshrrev_b32_e32 v13, 16, v5
	v_mul_f16_sdwa v64, v4, v15 dst_sel:DWORD dst_unused:UNUSED_PAD src0_sel:DWORD src1_sel:WORD_1
	v_fmac_f16_e32 v8, v52, v14
	v_mul_f16_sdwa v14, v12, v15 dst_sel:DWORD dst_unused:UNUSED_PAD src0_sel:DWORD src1_sel:WORD_1
	v_lshrrev_b32_e32 v52, 16, v58
	s_waitcnt vmcnt(1)
	v_mul_f16_sdwa v65, v13, v48 dst_sel:DWORD dst_unused:UNUSED_PAD src0_sel:DWORD src1_sel:WORD_1
	v_fmac_f16_e32 v64, v12, v15
	v_mul_f16_sdwa v12, v5, v48 dst_sel:DWORD dst_unused:UNUSED_PAD src0_sel:DWORD src1_sel:WORD_1
	v_fma_f16 v4, v4, v15, -v14
	v_add_f16_e32 v15, v7, v0
	v_fma_f16 v5, v5, v48, -v65
	v_sub_f16_e32 v71, v72, v7
	v_fmac_f16_e32 v12, v13, v48
	v_add_f16_e32 v13, v53, v2
	v_fma_f16 v15, -0.5, v15, v68
	v_sub_f16_e32 v67, v10, v5
	v_sub_f16_e32 v48, v10, v53
	;; [unrolled: 1-line block ×3, first 2 shown]
	v_fma_f16 v13, -0.5, v13, v49
	v_sub_f16_e32 v65, v5, v2
	v_sub_f16_e32 v74, v12, v0
	v_fmamk_f16 v75, v67, 0xbb9c, v15
	v_sub_f16_e32 v76, v53, v2
	v_fmamk_f16 v77, v69, 0x3b9c, v13
	v_sub_f16_e32 v78, v7, v0
	s_waitcnt vmcnt(0)
	v_mul_f16_sdwa v14, v52, v47 dst_sel:DWORD dst_unused:UNUSED_PAD src0_sel:DWORD src1_sel:WORD_1
	v_add_f16_e32 v48, v48, v65
	v_add_f16_e32 v65, v71, v74
	v_fmac_f16_e32 v75, 0xb8b4, v76
	v_fmac_f16_e32 v77, 0x38b4, v78
	v_fma_f16 v14, v58, v47, -v14
	v_mul_f16_sdwa v58, v58, v47 dst_sel:DWORD dst_unused:UNUSED_PAD src0_sel:DWORD src1_sel:WORD_1
	v_sub_f16_e32 v71, v50, v11
	v_sub_f16_e32 v74, v3, v1
	v_fmac_f16_e32 v75, 0x34f2, v65
	v_fmac_f16_e32 v77, 0x34f2, v48
	v_sub_f16_e32 v79, v70, v73
	v_sub_f16_e32 v80, v66, v63
	v_fmac_f16_e32 v58, v52, v47
	v_mul_f16_e32 v47, 0x38b4, v75
	v_mul_f16_e32 v52, 0xb8b4, v77
	v_add_f16_e32 v71, v71, v74
	v_lshrrev_b32_e32 v74, 16, v59
	v_add_f16_e32 v79, v79, v80
	v_fmac_f16_e32 v47, 0x3a79, v77
	v_fmac_f16_e32 v52, 0x3a79, v75
	v_add_f16_e32 v75, v59, v50
	v_add_f16_e32 v77, v74, v70
	;; [unrolled: 1-line block ×14, first 2 shown]
	v_fma_f16 v83, -0.5, v83, v59
	v_add_f16_e32 v75, v75, v3
	v_add_f16_e32 v77, v77, v66
	;; [unrolled: 1-line block ×4, first 2 shown]
	v_sub_f16_e32 v87, v70, v66
	v_fma_f16 v84, -0.5, v84, v74
	v_sub_f16_e32 v88, v50, v3
	v_add_f16_e32 v85, v75, v80
	v_add_f16_e32 v86, v77, v81
	v_sub_f16_e32 v90, v11, v1
	v_fmamk_f16 v89, v88, 0xbb9c, v84
	s_barrier
	v_pack_b32_f16 v82, v85, v86
	v_fmamk_f16 v85, v87, 0x3b9c, v83
	v_sub_f16_e32 v86, v73, v63
	v_fmac_f16_e32 v89, 0xb8b4, v90
	buffer_gl0_inv
	v_sub_f16_e32 v11, v11, v50
	v_sub_f16_e32 v1, v1, v3
	v_fmac_f16_e32 v85, 0x38b4, v86
	v_fmac_f16_e32 v89, 0x34f2, v79
	v_sub_f16_e32 v2, v2, v5
	v_sub_f16_e32 v0, v0, v12
	v_add_f16_e32 v1, v11, v1
	v_fmac_f16_e32 v85, 0x34f2, v71
	v_add_f16_e32 v92, v89, v52
	v_fmac_f16_e32 v13, 0xbb9c, v69
	v_fmac_f16_e32 v15, 0x3b9c, v67
	v_sub_f16_e32 v11, v73, v70
	v_add_f16_e32 v91, v85, v47
	v_fmac_f16_e32 v83, 0xbb9c, v87
	v_fmac_f16_e32 v13, 0xb8b4, v78
	;; [unrolled: 1-line block ×4, first 2 shown]
	v_pack_b32_f16 v91, v91, v92
	v_fmac_f16_e32 v83, 0xb8b4, v86
	v_fmac_f16_e32 v13, 0x34f2, v48
	v_fmac_f16_e32 v15, 0x34f2, v65
	v_add_f16_e32 v65, v29, v4
	ds_write2_b32 v46, v82, v91 offset1:10
	v_add_f16_e32 v82, v50, v3
	v_add_f16_e32 v50, v70, v66
	v_fmac_f16_e32 v83, 0x34f2, v71
	v_sub_f16_e32 v71, v9, v14
	v_fmac_f16_e32 v84, 0x38b4, v90
	v_fmac_f16_e32 v59, -0.5, v82
	v_fmac_f16_e32 v74, -0.5, v50
	v_sub_f16_e32 v50, v63, v66
	v_add_f16_e32 v66, v51, v29
	v_fmac_f16_e32 v84, 0x34f2, v79
	v_fmamk_f16 v3, v86, 0xbb9c, v59
	v_fmac_f16_e32 v59, 0x3b9c, v86
	v_fmamk_f16 v63, v90, 0x3b9c, v74
	v_fmac_f16_e32 v74, 0xbb9c, v90
	v_add_f16_e32 v11, v11, v50
	v_fmac_f16_e32 v3, 0x38b4, v87
	v_fmac_f16_e32 v59, 0xb8b4, v87
	;; [unrolled: 1-line block ×4, first 2 shown]
	v_add_f16_e32 v50, v6, v57
	v_fmac_f16_e32 v3, 0x34f2, v1
	v_fmac_f16_e32 v59, 0x34f2, v1
	v_add_f16_e32 v1, v10, v5
	v_sub_f16_e32 v10, v53, v10
	v_fmac_f16_e32 v63, 0x34f2, v11
	v_fmac_f16_e32 v74, 0x34f2, v11
	v_mul_f16_e32 v11, 0x3a79, v15
	v_fmac_f16_e32 v49, -0.5, v1
	v_add_f16_e32 v1, v72, v12
	v_add_f16_e32 v2, v10, v2
	v_mul_f16_e32 v10, 0x3a79, v13
	v_sub_f16_e32 v53, v29, v6
	v_fmamk_f16 v5, v78, 0xbb9c, v49
	v_fmac_f16_e32 v68, -0.5, v1
	v_fmac_f16_e32 v49, 0x3b9c, v78
	v_sub_f16_e32 v1, v7, v72
	v_fma_f16 v50, -0.5, v50, v51
	v_fmac_f16_e32 v5, 0x38b4, v69
	v_fmamk_f16 v7, v76, 0x3b9c, v68
	v_fmac_f16_e32 v49, 0xb8b4, v69
	v_add_f16_e32 v0, v1, v0
	v_fmac_f16_e32 v68, 0xbb9c, v76
	v_fmac_f16_e32 v5, 0x34f2, v2
	;; [unrolled: 1-line block ×4, first 2 shown]
	v_add_f16_e32 v66, v66, v6
	v_fmac_f16_e32 v68, 0x38b4, v67
	v_sub_f16_e32 v69, v57, v4
	v_fmac_f16_e32 v7, 0x34f2, v0
	v_mul_f16_e32 v2, 0x34f2, v49
	v_add_f16_e32 v66, v66, v57
	v_fmac_f16_e32 v68, 0x34f2, v0
	v_mul_f16_e32 v0, 0xbb9c, v5
	v_mul_f16_e32 v1, 0x3b9c, v7
	v_sub_f16_e32 v48, v89, v52
	v_sub_f16_e32 v12, v85, v47
	v_fma_f16 v2, v68, 0x3b9c, -v2
	v_fmac_f16_e32 v0, 0x34f2, v7
	v_fmac_f16_e32 v1, 0x34f2, v5
	v_mul_f16_e32 v5, 0x34f2, v68
	v_fma_f16 v7, v15, 0x38b4, -v10
	v_fma_f16 v10, v13, 0xb8b4, -v11
	v_sub_f16_e32 v68, v62, v56
	v_add_f16_e32 v13, v3, v1
	v_fma_f16 v5, v49, 0xbb9c, -v5
	v_sub_f16_e32 v1, v3, v1
	v_add_f16_e32 v3, v59, v2
	v_sub_f16_e32 v2, v59, v2
	v_add_f16_e32 v49, v63, v0
	v_sub_f16_e32 v0, v63, v0
	v_sub_f16_e32 v59, v4, v57
	;; [unrolled: 1-line block ×3, first 2 shown]
	v_add_f16_e32 v52, v74, v5
	v_sub_f16_e32 v11, v75, v80
	v_add_f16_e32 v15, v83, v7
	v_add_f16_e32 v53, v53, v59
	v_lshrrev_b32_e32 v59, 16, v51
	v_fmamk_f16 v67, v63, 0x3b9c, v50
	v_fmac_f16_e32 v51, -0.5, v65
	v_fmac_f16_e32 v50, 0xbb9c, v63
	v_sub_f16_e32 v65, v6, v29
	v_sub_f16_e32 v6, v6, v57
	v_fmac_f16_e32 v67, 0x38b4, v68
	v_fmamk_f16 v70, v68, 0xbb9c, v51
	v_fmac_f16_e32 v51, 0x3b9c, v68
	v_fmac_f16_e32 v50, 0xb8b4, v68
	v_add_f16_e32 v65, v65, v69
	v_fmac_f16_e32 v67, 0x34f2, v53
	v_fmac_f16_e32 v70, 0x38b4, v63
	;; [unrolled: 1-line block ×4, first 2 shown]
	v_add_f16_e32 v53, v66, v4
	v_add_f16_e32 v66, v62, v56
	v_fmac_f16_e32 v70, 0x34f2, v65
	v_fmac_f16_e32 v51, 0x34f2, v65
	v_add_f16_e32 v65, v59, v30
	v_sub_f16_e32 v4, v29, v4
	v_sub_f16_e32 v29, v30, v62
	;; [unrolled: 1-line block ×3, first 2 shown]
	v_fma_f16 v66, -0.5, v66, v59
	v_add_f16_e32 v57, v30, v64
	v_add_f16_e32 v65, v65, v62
	v_sub_f16_e32 v30, v62, v30
	v_add_f16_e32 v29, v29, v68
	v_fmamk_f16 v68, v4, 0xbb9c, v66
	v_fmac_f16_e32 v66, 0x3b9c, v4
	v_fmac_f16_e32 v59, -0.5, v57
	v_add_f16_e32 v65, v65, v56
	v_sub_f16_e32 v56, v56, v64
	v_fmac_f16_e32 v68, 0xb8b4, v6
	v_fmac_f16_e32 v66, 0x38b4, v6
	v_fmamk_f16 v62, v6, 0x3b9c, v59
	v_fmac_f16_e32 v59, 0xbb9c, v6
	v_add_f16_e32 v6, v55, v9
	v_fmac_f16_e32 v68, 0x34f2, v29
	v_fmac_f16_e32 v66, 0x34f2, v29
	v_add_f16_e32 v29, v30, v56
	v_fmac_f16_e32 v62, 0xb8b4, v4
	v_sub_f16_e32 v30, v61, v55
	v_sub_f16_e32 v56, v14, v9
	v_fmac_f16_e32 v59, 0x38b4, v4
	v_add_f16_e32 v4, v61, v14
	v_fma_f16 v6, -0.5, v6, v60
	v_sub_f16_e32 v69, v54, v8
	v_add_f16_e32 v30, v30, v56
	v_add_f16_e32 v56, v60, v61
	v_fmac_f16_e32 v60, -0.5, v4
	v_add_f16_e32 v57, v65, v64
	v_sub_f16_e32 v64, v27, v58
	v_sub_f16_e32 v4, v55, v61
	v_add_f16_e32 v56, v56, v55
	v_fmamk_f16 v72, v69, 0xbb9c, v60
	v_fmac_f16_e32 v60, 0x3b9c, v69
	v_fmamk_f16 v65, v64, 0x3b9c, v6
	v_fmac_f16_e32 v6, 0xbb9c, v64
	v_add_f16_e32 v4, v4, v71
	v_fmac_f16_e32 v72, 0x38b4, v64
	v_fmac_f16_e32 v60, 0xb8b4, v64
	;; [unrolled: 1-line block ×4, first 2 shown]
	v_add_f16_e32 v29, v56, v9
	v_fmac_f16_e32 v65, 0x38b4, v69
	v_fmac_f16_e32 v6, 0xb8b4, v69
	;; [unrolled: 1-line block ×4, first 2 shown]
	v_add_f16_e32 v4, v29, v14
	v_add_f16_e32 v29, v54, v8
	v_fmac_f16_e32 v65, 0x34f2, v30
	v_fmac_f16_e32 v6, 0x34f2, v30
	v_add_f16_e32 v30, v27, v58
	v_sub_f16_e32 v14, v61, v14
	v_sub_f16_e32 v9, v55, v9
	v_add_f16_e32 v55, v28, v27
	v_fma_f16 v29, -0.5, v29, v28
	v_fmac_f16_e32 v28, -0.5, v30
	v_sub_f16_e32 v56, v27, v54
	v_sub_f16_e32 v61, v58, v8
	v_add_f16_e32 v30, v55, v54
	v_sub_f16_e32 v27, v54, v27
	v_fmamk_f16 v54, v14, 0xbb9c, v29
	v_sub_f16_e32 v55, v8, v58
	v_fmamk_f16 v64, v9, 0x3b9c, v28
	v_fmac_f16_e32 v28, 0xbb9c, v9
	v_add_f16_e32 v56, v56, v61
	v_fmac_f16_e32 v54, 0xb8b4, v9
	v_fmac_f16_e32 v29, 0x3b9c, v14
	v_add_f16_e32 v27, v27, v55
	v_fmac_f16_e32 v64, 0xb8b4, v14
	v_fmac_f16_e32 v28, 0x38b4, v14
	;; [unrolled: 1-line block ×4, first 2 shown]
	v_mul_f16_e32 v14, 0xb8b4, v65
	v_fmac_f16_e32 v64, 0x34f2, v27
	v_fmac_f16_e32 v28, 0x34f2, v27
	v_add_f16_e32 v8, v30, v8
	v_mul_f16_e32 v9, 0x38b4, v54
	v_fmac_f16_e32 v29, 0x34f2, v56
	v_fmac_f16_e32 v14, 0x3a79, v54
	v_mul_f16_e32 v54, 0x34f2, v60
	v_mul_f16_e32 v56, 0x3a79, v6
	v_sub_f16_e32 v47, v77, v81
	v_add_f16_e32 v63, v84, v10
	v_mul_f16_e32 v30, 0x3b9c, v64
	v_mul_f16_e32 v27, 0xbb9c, v72
	;; [unrolled: 1-line block ×3, first 2 shown]
	v_add_f16_e32 v8, v8, v58
	v_fmac_f16_e32 v9, 0x3a79, v65
	v_mul_f16_e32 v58, 0x3a79, v29
	v_fma_f16 v28, v28, 0x3b9c, -v54
	v_fma_f16 v29, v29, 0x38b4, -v56
	v_pack_b32_f16 v13, v13, v49
	v_pack_b32_f16 v3, v3, v52
	v_fmac_f16_e32 v30, 0x34f2, v72
	v_fmac_f16_e32 v27, 0x34f2, v64
	v_fma_f16 v54, v60, 0xbb9c, -v55
	v_pack_b32_f16 v15, v15, v63
	v_pack_b32_f16 v11, v11, v47
	v_sub_f16_e32 v7, v83, v7
	v_sub_f16_e32 v5, v74, v5
	;; [unrolled: 1-line block ×3, first 2 shown]
	v_fma_f16 v6, v6, 0xb8b4, -v58
	v_add_f16_e32 v55, v53, v4
	v_sub_f16_e32 v4, v53, v4
	v_add_f16_e32 v53, v67, v9
	v_add_f16_e32 v58, v51, v28
	v_sub_f16_e32 v51, v51, v28
	v_add_f16_e32 v28, v50, v29
	v_sub_f16_e32 v29, v50, v29
	;; [unrolled: 2-line block ×3, first 2 shown]
	v_add_f16_e32 v57, v68, v14
	ds_write2_b32 v46, v13, v3 offset0:20 offset1:30
	ds_write2_b32 v46, v15, v11 offset0:40 offset1:50
	v_mul_u32_u24_e32 v3, 0x190, v32
	v_lshlrev_b32_sdwa v11, v44, v45 dst_sel:DWORD dst_unused:UNUSED_PAD src0_sel:DWORD src1_sel:WORD_0
	v_add_f16_e32 v56, v70, v30
	v_add_f16_e32 v60, v62, v27
	;; [unrolled: 1-line block ×3, first 2 shown]
	v_pack_b32_f16 v12, v12, v48
	v_pack_b32_f16 v0, v1, v0
	v_add_nc_u32_e32 v13, 0xffffff9c, v18
	v_pack_b32_f16 v1, v2, v5
	v_pack_b32_f16 v2, v7, v10
	v_add3_u32 v3, 0, v3, v11
	v_pack_b32_f16 v5, v55, v50
	v_pack_b32_f16 v7, v53, v57
	;; [unrolled: 1-line block ×4, first 2 shown]
	v_sub_f16_e32 v30, v70, v30
	v_sub_f16_e32 v27, v62, v27
	v_add_f16_e32 v52, v66, v6
	ds_write2_b32 v46, v12, v0 offset0:60 offset1:70
	ds_write2_b32 v46, v1, v2 offset0:80 offset1:90
	ds_write2_b32 v3, v5, v7 offset1:10
	ds_write2_b32 v3, v10, v11 offset0:20 offset1:30
	v_cndmask_b32_e64 v46, v13, v18, s0
	v_sub_f16_e32 v9, v67, v9
	v_sub_f16_e32 v14, v68, v14
	;; [unrolled: 1-line block ×4, first 2 shown]
	v_pack_b32_f16 v2, v28, v52
	v_pack_b32_f16 v7, v30, v27
	v_mul_i32_i24_e32 v27, 9, v46
	v_mov_b32_e32 v28, 0
	v_pack_b32_f16 v4, v4, v8
	v_pack_b32_f16 v5, v9, v14
	v_lshrrev_b16 v9, 2, v20
	v_mov_b32_e32 v10, 0x147b
	v_pack_b32_f16 v8, v51, v49
	v_pack_b32_f16 v6, v29, v6
	v_lshlrev_b64 v[0:1], 2, v[27:28]
	ds_write2_b32 v3, v2, v4 offset0:40 offset1:50
	ds_write2_b32 v3, v5, v7 offset0:60 offset1:70
	;; [unrolled: 1-line block ×3, first 2 shown]
	v_mul_u32_u24_sdwa v2, v9, v10 dst_sel:DWORD dst_unused:UNUSED_PAD src0_sel:WORD_0 src1_sel:DWORD
	s_waitcnt lgkmcnt(0)
	s_barrier
	v_add_co_u32 v29, s0, s12, v0
	v_lshrrev_b32_e32 v27, 17, v2
	v_add_co_ci_u32_e64 v30, s0, s13, v1, s0
	buffer_gl0_inv
	v_cmp_lt_u32_e64 s0, 0x63, v18
	v_mul_lo_u16 v0, 0x64, v27
	global_load_dwordx4 v[8:11], v[29:30], off offset:360
	v_lshlrev_b32_e32 v46, 2, v46
	v_mul_u32_u24_e32 v27, 0xfa0, v27
	v_cndmask_b32_e64 v82, 0, 0xfa0, s0
	v_sub_nc_u16 v45, v20, v0
	v_add3_u32 v46, 0, v82, v46
	v_mul_u32_u24_sdwa v0, v45, v31 dst_sel:DWORD dst_unused:UNUSED_PAD src0_sel:WORD_0 src1_sel:DWORD
	v_lshlrev_b32_sdwa v44, v44, v45 dst_sel:DWORD dst_unused:UNUSED_PAD src0_sel:DWORD src1_sel:WORD_0
	v_add_nc_u32_e32 v45, 0x400, v46
	v_lshlrev_b32_e32 v31, 2, v0
	s_clause 0x4
	global_load_dwordx4 v[4:7], v31, s[12:13] offset:360
	global_load_dwordx4 v[0:3], v[29:30], off offset:376
	global_load_dwordx4 v[12:15], v31, s[12:13] offset:376
	global_load_dword v48, v[29:30], off offset:392
	global_load_dword v47, v31, s[12:13] offset:392
	ds_read_b32 v50, v36
	ds_read_b32 v49, v35
	ds_read2_b32 v[31:32], v38 offset0:40 offset1:240
	ds_read2_b32 v[29:30], v37 offset0:24 offset1:224
	ds_read_b32 v51, v41
	ds_read_b32 v54, v33 offset:15200
	ds_read_b32 v55, v33 offset:2400
	v_add3_u32 v27, 0, v27, v44
	s_waitcnt lgkmcnt(6)
	v_lshrrev_b32_e32 v52, 16, v50
	s_waitcnt lgkmcnt(5)
	v_lshrrev_b32_e32 v53, 16, v49
	;; [unrolled: 2-line block ×4, first 2 shown]
	s_waitcnt vmcnt(5)
	v_mul_f16_sdwa v56, v8, v52 dst_sel:DWORD dst_unused:UNUSED_PAD src0_sel:WORD_1 src1_sel:DWORD
	v_mul_f16_sdwa v57, v8, v50 dst_sel:DWORD dst_unused:UNUSED_PAD src0_sel:WORD_1 src1_sel:DWORD
	;; [unrolled: 1-line block ×5, first 2 shown]
	v_fma_f16 v56, v8, v50, -v56
	v_fmac_f16_e32 v57, v8, v52
	v_lshrrev_b32_e32 v8, 16, v32
	v_fma_f16 v58, v9, v49, -v58
	v_lshrrev_b32_e32 v49, 16, v30
	s_waitcnt lgkmcnt(0)
	v_lshrrev_b32_e32 v52, 16, v55
	v_fmac_f16_e32 v59, v9, v53
	v_mul_f16_sdwa v50, v10, v8 dst_sel:DWORD dst_unused:UNUSED_PAD src0_sel:WORD_1 src1_sel:DWORD
	v_fmac_f16_e32 v60, v10, v8
	ds_read2_b32 v[8:9], v39 offset0:8 offset1:208
	ds_read_b32 v62, v33
	v_mul_f16_sdwa v61, v11, v30 dst_sel:DWORD dst_unused:UNUSED_PAD src0_sel:WORD_1 src1_sel:DWORD
	v_mul_f16_sdwa v53, v11, v49 dst_sel:DWORD dst_unused:UNUSED_PAD src0_sel:WORD_1 src1_sel:DWORD
	v_fma_f16 v32, v10, v32, -v50
	s_waitcnt vmcnt(4)
	v_mul_f16_sdwa v10, v52, v4 dst_sel:DWORD dst_unused:UNUSED_PAD src0_sel:DWORD src1_sel:WORD_1
	v_mul_f16_sdwa v65, v55, v4 dst_sel:DWORD dst_unused:UNUSED_PAD src0_sel:DWORD src1_sel:WORD_1
	v_fmac_f16_e32 v61, v11, v49
	v_fma_f16 v30, v11, v30, -v53
	v_mul_f16_sdwa v66, v63, v5 dst_sel:DWORD dst_unused:UNUSED_PAD src0_sel:DWORD src1_sel:WORD_1
	v_fma_f16 v55, v55, v4, -v10
	ds_read2_b32 v[10:11], v40 offset0:24 offset1:224
	v_mul_f16_sdwa v67, v64, v6 dst_sel:DWORD dst_unused:UNUSED_PAD src0_sel:DWORD src1_sel:WORD_1
	v_fmac_f16_e32 v65, v52, v4
	ds_read2_b32 v[49:50], v21 offset0:40 offset1:240
	v_fma_f16 v66, v31, v5, -v66
	ds_read2_b32 v[52:53], v42 offset0:24 offset1:224
	v_mul_f16_sdwa v31, v31, v5 dst_sel:DWORD dst_unused:UNUSED_PAD src0_sel:DWORD src1_sel:WORD_1
	v_fma_f16 v67, v29, v6, -v67
	v_mul_f16_sdwa v29, v29, v6 dst_sel:DWORD dst_unused:UNUSED_PAD src0_sel:DWORD src1_sel:WORD_1
	s_waitcnt lgkmcnt(4)
	v_lshrrev_b32_e32 v4, 16, v8
	v_lshrrev_b32_e32 v68, 16, v9
	v_fmac_f16_e32 v31, v63, v5
	v_mul_f16_sdwa v63, v8, v7 dst_sel:DWORD dst_unused:UNUSED_PAD src0_sel:DWORD src1_sel:WORD_1
	v_fmac_f16_e32 v29, v64, v6
	v_mul_f16_sdwa v5, v4, v7 dst_sel:DWORD dst_unused:UNUSED_PAD src0_sel:DWORD src1_sel:WORD_1
	s_waitcnt vmcnt(3)
	v_mul_f16_sdwa v69, v68, v0 dst_sel:DWORD dst_unused:UNUSED_PAD src0_sel:DWORD src1_sel:WORD_1
	v_mul_f16_sdwa v6, v9, v0 dst_sel:DWORD dst_unused:UNUSED_PAD src0_sel:DWORD src1_sel:WORD_1
	v_fmac_f16_e32 v63, v4, v7
	s_waitcnt vmcnt(0)
	v_mul_f16_sdwa v79, v54, v47 dst_sel:DWORD dst_unused:UNUSED_PAD src0_sel:DWORD src1_sel:WORD_1
	v_fma_f16 v7, v8, v7, -v5
	v_fma_f16 v8, v9, v0, -v69
	s_waitcnt lgkmcnt(2)
	v_lshrrev_b32_e32 v4, 16, v11
	v_fmac_f16_e32 v6, v68, v0
	v_mul_f16_sdwa v0, v11, v1 dst_sel:DWORD dst_unused:UNUSED_PAD src0_sel:DWORD src1_sel:WORD_1
	s_waitcnt lgkmcnt(1)
	v_lshrrev_b32_e32 v9, 16, v50
	v_mul_f16_sdwa v64, v50, v2 dst_sel:DWORD dst_unused:UNUSED_PAD src0_sel:DWORD src1_sel:WORD_1
	v_mul_f16_sdwa v70, v4, v1 dst_sel:DWORD dst_unused:UNUSED_PAD src0_sel:DWORD src1_sel:WORD_1
	s_waitcnt lgkmcnt(0)
	v_lshrrev_b32_e32 v68, 16, v53
	v_fmac_f16_e32 v0, v4, v1
	ds_read2_b32 v[4:5], v43 offset0:8 offset1:208
	v_mul_f16_sdwa v69, v53, v3 dst_sel:DWORD dst_unused:UNUSED_PAD src0_sel:DWORD src1_sel:WORD_1
	v_lshrrev_b32_e32 v71, 16, v10
	v_fmac_f16_e32 v64, v9, v2
	v_mul_f16_sdwa v9, v9, v2 dst_sel:DWORD dst_unused:UNUSED_PAD src0_sel:DWORD src1_sel:WORD_1
	v_lshrrev_b32_e32 v72, 16, v49
	v_fmac_f16_e32 v69, v68, v3
	v_mul_f16_sdwa v68, v68, v3 dst_sel:DWORD dst_unused:UNUSED_PAD src0_sel:DWORD src1_sel:WORD_1
	v_fma_f16 v1, v11, v1, -v70
	v_lshrrev_b32_e32 v11, 16, v52
	v_mul_f16_sdwa v70, v71, v12 dst_sel:DWORD dst_unused:UNUSED_PAD src0_sel:DWORD src1_sel:WORD_1
	v_fma_f16 v2, v50, v2, -v9
	v_mul_f16_sdwa v9, v72, v13 dst_sel:DWORD dst_unused:UNUSED_PAD src0_sel:DWORD src1_sel:WORD_1
	v_fma_f16 v3, v53, v3, -v68
	;; [unrolled: 2-line block ×5, first 2 shown]
	v_mul_f16_sdwa v52, v52, v14 dst_sel:DWORD dst_unused:UNUSED_PAD src0_sel:DWORD src1_sel:WORD_1
	v_fmac_f16_e32 v10, v71, v12
	s_waitcnt lgkmcnt(0)
	v_lshrrev_b32_e32 v12, 16, v4
	v_lshrrev_b32_e32 v68, 16, v5
	v_fmac_f16_e32 v49, v72, v13
	v_mul_f16_sdwa v13, v4, v15 dst_sel:DWORD dst_unused:UNUSED_PAD src0_sel:DWORD src1_sel:WORD_1
	v_fmac_f16_e32 v52, v11, v14
	v_mul_f16_sdwa v11, v12, v15 dst_sel:DWORD dst_unused:UNUSED_PAD src0_sel:DWORD src1_sel:WORD_1
	v_mul_f16_sdwa v14, v68, v48 dst_sel:DWORD dst_unused:UNUSED_PAD src0_sel:DWORD src1_sel:WORD_1
	;; [unrolled: 1-line block ×3, first 2 shown]
	v_fmac_f16_e32 v13, v12, v15
	v_lshrrev_b32_e32 v12, 16, v54
	v_fma_f16 v4, v4, v15, -v11
	v_fma_f16 v5, v5, v48, -v14
	v_fmac_f16_e32 v70, v68, v48
	v_add_f16_e32 v11, v6, v64
	v_add_f16_e32 v15, v8, v2
	v_sub_f16_e32 v48, v32, v8
	v_sub_f16_e32 v71, v32, v5
	;; [unrolled: 1-line block ×3, first 2 shown]
	v_fma_f16 v11, -0.5, v11, v57
	v_fma_f16 v15, -0.5, v15, v56
	v_sub_f16_e32 v68, v5, v2
	v_sub_f16_e32 v73, v60, v6
	;; [unrolled: 1-line block ×3, first 2 shown]
	v_fmamk_f16 v75, v71, 0xbb9c, v11
	v_sub_f16_e32 v76, v8, v2
	v_fmamk_f16 v77, v72, 0x3b9c, v15
	v_sub_f16_e32 v78, v6, v64
	v_mul_f16_sdwa v14, v12, v47 dst_sel:DWORD dst_unused:UNUSED_PAD src0_sel:DWORD src1_sel:WORD_1
	v_add_f16_e32 v48, v48, v68
	v_add_f16_e32 v68, v73, v74
	v_fmac_f16_e32 v75, 0xb8b4, v76
	v_fmac_f16_e32 v77, 0x38b4, v78
	v_fma_f16 v14, v54, v47, -v14
	v_fmac_f16_e32 v79, v12, v47
	v_sub_f16_e32 v12, v58, v30
	v_fmac_f16_e32 v75, 0x34f2, v68
	v_fmac_f16_e32 v77, 0x34f2, v48
	v_sub_f16_e32 v47, v3, v1
	v_sub_f16_e32 v54, v59, v61
	;; [unrolled: 1-line block ×3, first 2 shown]
	v_mul_f16_e32 v74, 0x38b4, v75
	v_mul_f16_e32 v80, 0xb8b4, v77
	v_add_f16_e32 v12, v12, v47
	v_lshrrev_b32_e32 v47, 16, v62
	v_add_f16_e32 v54, v54, v73
	v_fmac_f16_e32 v74, 0x3a79, v77
	v_fmac_f16_e32 v80, 0x3a79, v75
	v_add_f16_e32 v73, v62, v58
	v_add_f16_e32 v75, v47, v59
	;; [unrolled: 1-line block ×14, first 2 shown]
	v_fma_f16 v83, -0.5, v83, v62
	v_add_f16_e32 v73, v73, v3
	v_add_f16_e32 v75, v75, v69
	;; [unrolled: 1-line block ×4, first 2 shown]
	v_sub_f16_e32 v84, v59, v69
	v_fma_f16 v82, -0.5, v82, v47
	v_sub_f16_e32 v89, v58, v3
	v_add_f16_e32 v85, v73, v77
	v_add_f16_e32 v86, v75, v81
	v_fmamk_f16 v87, v84, 0x3b9c, v83
	v_sub_f16_e32 v88, v61, v0
	v_sub_f16_e32 v90, v30, v1
	v_pack_b32_f16 v85, v85, v86
	v_fmamk_f16 v86, v89, 0xbb9c, v82
	v_fmac_f16_e32 v87, 0x38b4, v88
	s_barrier
	buffer_gl0_inv
	v_fmac_f16_e32 v83, 0xbb9c, v84
	v_fmac_f16_e32 v86, 0xb8b4, v90
	;; [unrolled: 1-line block ×3, first 2 shown]
	v_sub_f16_e32 v30, v30, v58
	v_sub_f16_e32 v1, v1, v3
	v_fmac_f16_e32 v83, 0xb8b4, v88
	v_fmac_f16_e32 v86, 0x34f2, v54
	v_add_f16_e32 v91, v87, v74
	v_sub_f16_e32 v0, v0, v69
	v_add_f16_e32 v1, v30, v1
	v_fmac_f16_e32 v83, 0x34f2, v12
	v_add_f16_e32 v92, v86, v80
	v_sub_f16_e32 v12, v61, v59
	v_sub_f16_e32 v2, v2, v5
	;; [unrolled: 1-line block ×3, first 2 shown]
	v_fmac_f16_e32 v11, 0x3b9c, v71
	v_pack_b32_f16 v91, v91, v92
	v_add_f16_e32 v0, v12, v0
	v_add_f16_e32 v12, v60, v70
	v_fmac_f16_e32 v15, 0xbb9c, v72
	v_fmac_f16_e32 v11, 0x38b4, v76
	ds_write2_b32 v46, v85, v91 offset1:100
	v_add_f16_e32 v85, v58, v3
	v_add_f16_e32 v58, v59, v69
	v_fmac_f16_e32 v57, -0.5, v12
	v_add_f16_e32 v60, v66, v4
	v_fmac_f16_e32 v15, 0xb8b4, v78
	v_fmac_f16_e32 v62, -0.5, v85
	v_fmac_f16_e32 v47, -0.5, v58
	v_fmamk_f16 v12, v76, 0x3b9c, v57
	v_fmac_f16_e32 v57, 0xbb9c, v76
	v_sub_f16_e32 v58, v4, v9
	v_fmamk_f16 v3, v88, 0xbb9c, v62
	v_fmac_f16_e32 v62, 0x3b9c, v88
	v_fmamk_f16 v30, v90, 0x3b9c, v47
	v_fmac_f16_e32 v47, 0xbb9c, v90
	v_fmac_f16_e32 v12, 0xb8b4, v71
	;; [unrolled: 1-line block ×9, first 2 shown]
	v_add_f16_e32 v1, v32, v5
	v_fmac_f16_e32 v30, 0x34f2, v0
	v_fmac_f16_e32 v47, 0x34f2, v0
	;; [unrolled: 1-line block ×3, first 2 shown]
	v_add_f16_e32 v61, v51, v66
	v_fmac_f16_e32 v56, -0.5, v1
	v_sub_f16_e32 v1, v8, v32
	v_sub_f16_e32 v8, v64, v70
	;; [unrolled: 1-line block ×3, first 2 shown]
	v_fmac_f16_e32 v15, 0x34f2, v48
	v_fmamk_f16 v5, v78, 0xbb9c, v56
	v_fmac_f16_e32 v56, 0x3b9c, v78
	v_add_f16_e32 v1, v1, v2
	v_add_f16_e32 v2, v6, v8
	v_mul_f16_e32 v8, 0x3a79, v11
	v_fmac_f16_e32 v5, 0x38b4, v72
	v_fmac_f16_e32 v56, 0xb8b4, v72
	v_sub_f16_e32 v68, v9, v4
	v_fmac_f16_e32 v12, 0x34f2, v2
	v_fmac_f16_e32 v57, 0x34f2, v2
	;; [unrolled: 1-line block ×4, first 2 shown]
	v_mul_f16_e32 v6, 0x3a79, v15
	v_mul_f16_e32 v0, 0x3b9c, v12
	v_fma_f16 v8, v15, 0xb8b4, -v8
	v_mul_f16_e32 v1, 0xbb9c, v5
	v_mul_f16_e32 v2, 0x34f2, v56
	v_add_f16_e32 v61, v61, v7
	v_fmac_f16_e32 v0, 0x34f2, v5
	v_mul_f16_e32 v5, 0x34f2, v57
	v_fmac_f16_e32 v1, 0x34f2, v12
	v_fma_f16 v2, v57, 0x3b9c, -v2
	v_sub_f16_e32 v57, v66, v7
	v_add_f16_e32 v15, v3, v0
	v_fma_f16 v5, v56, 0xbb9c, -v5
	v_add_f16_e32 v56, v30, v1
	v_sub_f16_e32 v1, v30, v1
	v_add_f16_e32 v30, v7, v9
	v_add_f16_e32 v57, v57, v58
	v_lshrrev_b32_e32 v58, 16, v51
	v_add_f16_e32 v59, v47, v5
	v_sub_f16_e32 v5, v47, v5
	v_fma_f16 v30, -0.5, v30, v51
	v_fmac_f16_e32 v51, -0.5, v60
	v_sub_f16_e32 v47, v31, v13
	v_sub_f16_e32 v60, v7, v66
	;; [unrolled: 1-line block ×3, first 2 shown]
	v_add_f16_e32 v3, v62, v2
	v_fmamk_f16 v69, v64, 0xbb9c, v51
	v_fmac_f16_e32 v51, 0x3b9c, v64
	v_sub_f16_e32 v2, v62, v2
	v_fmamk_f16 v62, v47, 0x3b9c, v30
	v_fmac_f16_e32 v30, 0xbb9c, v47
	v_add_f16_e32 v60, v60, v68
	v_fmac_f16_e32 v69, 0x38b4, v47
	v_fmac_f16_e32 v51, 0xb8b4, v47
	;; [unrolled: 1-line block ×4, first 2 shown]
	v_add_f16_e32 v61, v61, v9
	v_fmac_f16_e32 v69, 0x34f2, v60
	v_fmac_f16_e32 v51, 0x34f2, v60
	v_add_f16_e32 v60, v58, v31
	v_fmac_f16_e32 v62, 0x34f2, v57
	v_fmac_f16_e32 v30, 0x34f2, v57
	v_add_f16_e32 v57, v61, v4
	v_add_f16_e32 v61, v63, v49
	;; [unrolled: 1-line block ×3, first 2 shown]
	v_sub_f16_e32 v7, v7, v9
	v_add_f16_e32 v9, v31, v13
	v_sub_f16_e32 v4, v66, v4
	v_sub_f16_e32 v64, v31, v63
	;; [unrolled: 1-line block ×3, first 2 shown]
	v_fma_f16 v61, -0.5, v61, v58
	v_add_f16_e32 v60, v60, v49
	v_fmac_f16_e32 v58, -0.5, v9
	v_sub_f16_e32 v9, v63, v31
	v_add_f16_e32 v64, v64, v66
	v_fmamk_f16 v66, v4, 0xbb9c, v61
	v_fmac_f16_e32 v61, 0x3b9c, v4
	v_add_f16_e32 v31, v60, v13
	v_sub_f16_e32 v13, v49, v13
	v_fmamk_f16 v49, v7, 0x3b9c, v58
	v_fmac_f16_e32 v58, 0xbb9c, v7
	v_fmac_f16_e32 v66, 0xb8b4, v7
	;; [unrolled: 1-line block ×3, first 2 shown]
	v_add_f16_e32 v7, v53, v50
	v_add_f16_e32 v9, v9, v13
	v_sub_f16_e32 v13, v67, v53
	v_sub_f16_e32 v60, v14, v50
	v_fmac_f16_e32 v49, 0xb8b4, v4
	v_fmac_f16_e32 v58, 0x38b4, v4
	v_add_f16_e32 v4, v67, v14
	v_fma_f16 v7, -0.5, v7, v55
	v_add_f16_e32 v13, v13, v60
	v_add_f16_e32 v60, v55, v67
	v_sub_f16_e32 v68, v10, v52
	v_fmac_f16_e32 v55, -0.5, v4
	v_sub_f16_e32 v63, v29, v79
	v_sub_f16_e32 v4, v53, v67
	;; [unrolled: 1-line block ×3, first 2 shown]
	v_add_f16_e32 v60, v60, v53
	v_fmamk_f16 v71, v68, 0xbb9c, v55
	v_fmac_f16_e32 v55, 0x3b9c, v68
	v_fmac_f16_e32 v49, 0x34f2, v9
	v_add_f16_e32 v4, v4, v70
	v_fmac_f16_e32 v58, 0x34f2, v9
	v_fmac_f16_e32 v71, 0x38b4, v63
	v_fmac_f16_e32 v55, 0xb8b4, v63
	v_add_f16_e32 v9, v60, v50
	v_fmac_f16_e32 v66, 0x34f2, v64
	v_fmac_f16_e32 v61, 0x34f2, v64
	v_fmamk_f16 v64, v63, 0x3b9c, v7
	v_fmac_f16_e32 v7, 0xbb9c, v63
	v_fmac_f16_e32 v71, 0x34f2, v4
	;; [unrolled: 1-line block ×3, first 2 shown]
	v_add_f16_e32 v4, v9, v14
	v_sub_f16_e32 v9, v67, v14
	v_add_f16_e32 v14, v10, v52
	v_fmac_f16_e32 v64, 0x38b4, v68
	v_fmac_f16_e32 v7, 0xb8b4, v68
	v_add_f16_e32 v63, v29, v79
	v_add_f16_e32 v67, v65, v29
	v_fma_f16 v14, -0.5, v14, v65
	v_fmac_f16_e32 v64, 0x34f2, v13
	v_fmac_f16_e32 v7, 0x34f2, v13
	v_sub_f16_e32 v13, v29, v10
	v_sub_f16_e32 v60, v79, v52
	v_sub_f16_e32 v50, v53, v50
	v_fmac_f16_e32 v65, -0.5, v63
	v_add_f16_e32 v53, v67, v10
	v_sub_f16_e32 v10, v10, v29
	v_fmamk_f16 v29, v9, 0xbb9c, v14
	v_add_f16_e32 v13, v13, v60
	v_sub_f16_e32 v60, v52, v79
	v_fmamk_f16 v63, v50, 0x3b9c, v65
	v_fmac_f16_e32 v65, 0xbb9c, v50
	v_fmac_f16_e32 v14, 0x3b9c, v9
	;; [unrolled: 1-line block ×3, first 2 shown]
	v_add_f16_e32 v10, v10, v60
	v_fmac_f16_e32 v63, 0xb8b4, v9
	v_fmac_f16_e32 v65, 0x38b4, v9
	;; [unrolled: 1-line block ×5, first 2 shown]
	v_mul_f16_e32 v50, 0xb8b4, v64
	v_add_f16_e32 v52, v53, v52
	v_fmac_f16_e32 v63, 0x34f2, v10
	v_fmac_f16_e32 v65, 0x34f2, v10
	;; [unrolled: 1-line block ×4, first 2 shown]
	v_mul_f16_e32 v13, 0x38b4, v29
	v_fmac_f16_e32 v50, 0x3a79, v29
	v_mul_f16_e32 v29, 0x34f2, v55
	v_mul_f16_e32 v60, 0x3a79, v7
	v_add_f16_e32 v9, v52, v79
	v_mul_f16_e32 v52, 0x3b9c, v63
	v_mul_f16_e32 v10, 0xbb9c, v71
	;; [unrolled: 1-line block ×3, first 2 shown]
	v_fmac_f16_e32 v82, 0x34f2, v54
	v_fma_f16 v6, v11, 0x38b4, -v6
	v_fmac_f16_e32 v13, 0x3a79, v64
	v_mul_f16_e32 v64, 0x3a79, v14
	v_fma_f16 v29, v65, 0x3b9c, -v29
	v_fma_f16 v14, v14, 0x38b4, -v60
	v_fmac_f16_e32 v52, 0x34f2, v71
	v_fmac_f16_e32 v10, 0x34f2, v63
	v_fma_f16 v53, v55, 0xbb9c, -v53
	v_sub_f16_e32 v11, v73, v77
	v_add_f16_e32 v32, v83, v6
	v_sub_f16_e32 v48, v75, v81
	v_add_f16_e32 v47, v82, v8
	v_sub_f16_e32 v12, v87, v74
	v_sub_f16_e32 v54, v86, v80
	;; [unrolled: 1-line block ×4, first 2 shown]
	v_add_f16_e32 v55, v57, v4
	v_sub_f16_e32 v4, v57, v4
	v_add_f16_e32 v57, v62, v13
	v_sub_f16_e32 v13, v62, v13
	;; [unrolled: 2-line block ×5, first 2 shown]
	v_add_f16_e32 v31, v66, v50
	v_add_f16_e32 v60, v69, v52
	v_sub_f16_e32 v52, v69, v52
	v_add_f16_e32 v63, v49, v10
	v_sub_f16_e32 v10, v49, v10
	v_add_f16_e32 v49, v58, v53
	v_pack_b32_f16 v15, v15, v56
	v_pack_b32_f16 v3, v3, v59
	v_pack_b32_f16 v0, v0, v1
	v_add_nc_u32_e32 v1, 0x200, v46
	v_pack_b32_f16 v32, v32, v47
	v_pack_b32_f16 v11, v11, v48
	;; [unrolled: 1-line block ×4, first 2 shown]
	v_add_nc_u32_e32 v5, 0x800, v46
	v_pack_b32_f16 v6, v6, v8
	v_add_nc_u32_e32 v8, 0xc00, v46
	v_fma_f16 v7, v7, 0xb8b4, -v64
	v_pack_b32_f16 v30, v55, v30
	v_pack_b32_f16 v31, v57, v31
	ds_write2_b32 v1, v15, v3 offset0:72 offset1:172
	ds_write2_b32 v45, v32, v11 offset0:144 offset1:244
	;; [unrolled: 1-line block ×4, first 2 shown]
	ds_write2_b32 v27, v30, v31 offset1:100
	v_pack_b32_f16 v0, v60, v63
	v_pack_b32_f16 v1, v62, v49
	v_add_nc_u32_e32 v2, 0x200, v27
	v_pack_b32_f16 v8, v52, v10
	v_mul_u32_u24_e32 v10, 3, v18
	v_sub_f16_e32 v53, v58, v53
	v_add_f16_e32 v58, v61, v7
	v_sub_f16_e32 v50, v66, v50
	ds_write2_b32 v2, v0, v1 offset0:72 offset1:172
	v_lshlrev_b32_e32 v0, 2, v10
	v_sub_f16_e32 v7, v61, v7
	v_pack_b32_f16 v3, v51, v58
	v_pack_b32_f16 v4, v4, v9
	v_add_nc_u32_e32 v5, 0x400, v27
	v_add_nc_u32_e32 v9, 0x800, v27
	;; [unrolled: 1-line block ×3, first 2 shown]
	v_mul_i32_i24_e32 v27, 3, v20
	v_pack_b32_f16 v6, v13, v50
	v_add_co_u32 v0, s0, s12, v0
	v_pack_b32_f16 v11, v29, v53
	v_pack_b32_f16 v7, v14, v7
	v_add_co_ci_u32_e64 v1, null, s13, 0, s0
	ds_write2_b32 v5, v3, v4 offset0:144 offset1:244
	ds_write2_b32 v9, v6, v8 offset0:88 offset1:188
	;; [unrolled: 1-line block ×3, first 2 shown]
	v_lshlrev_b64 v[3:4], 2, v[27:28]
	v_add_co_u32 v0, s0, 0x800, v0
	v_add_co_ci_u32_e64 v1, s0, 0, v1, s0
	v_mul_i32_i24_e32 v27, 3, v26
	v_add_co_u32 v3, s0, s12, v3
	s_waitcnt lgkmcnt(0)
	s_barrier
	buffer_gl0_inv
	global_load_dwordx3 v[0:2], v[0:1], off offset:1912
	v_add_co_ci_u32_e64 v4, s0, s13, v4, s0
	v_add_co_u32 v3, s0, 0x800, v3
	v_lshlrev_b64 v[6:7], 2, v[27:28]
	v_add_co_ci_u32_e64 v4, s0, 0, v4, s0
	v_mul_i32_i24_e32 v27, 3, v25
	global_load_dwordx3 v[3:5], v[3:4], off offset:1912
	v_add_co_u32 v6, s0, s12, v6
	v_add_co_ci_u32_e64 v7, s0, s13, v7, s0
	v_lshlrev_b64 v[9:10], 2, v[27:28]
	v_add_co_u32 v6, s0, 0x800, v6
	v_add_co_ci_u32_e64 v7, s0, 0, v7, s0
	v_mul_i32_i24_e32 v27, 3, v24
	v_add_co_u32 v9, s0, s12, v9
	v_add_co_ci_u32_e64 v10, s0, s13, v10, s0
	global_load_dwordx3 v[6:8], v[6:7], off offset:1912
	v_add_co_u32 v9, s0, 0x800, v9
	v_add_co_ci_u32_e64 v10, s0, 0, v10, s0
	v_lshlrev_b64 v[12:13], 2, v[27:28]
	global_load_dwordx3 v[9:11], v[9:10], off offset:1912
	v_add_co_u32 v12, s0, s12, v12
	v_add_co_ci_u32_e64 v13, s0, s13, v13, s0
	v_add_co_u32 v12, s0, 0x800, v12
	v_add_co_ci_u32_e64 v13, s0, 0, v13, s0
	global_load_dwordx3 v[12:14], v[12:13], off offset:1912
	ds_read2_b32 v[29:30], v40 offset0:24 offset1:224
	ds_read2_b32 v[31:32], v42 offset0:24 offset1:224
	;; [unrolled: 1-line block ×6, first 2 shown]
	ds_read_b32 v15, v33
	s_waitcnt lgkmcnt(6)
	v_lshrrev_b32_e32 v27, 16, v29
	s_waitcnt lgkmcnt(5)
	v_lshrrev_b32_e32 v46, 16, v32
	v_lshrrev_b32_e32 v54, 16, v31
	s_waitcnt lgkmcnt(3)
	v_lshrrev_b32_e32 v48, 16, v37
	;; [unrolled: 3-line block ×3, first 2 shown]
	v_lshrrev_b32_e32 v50, 16, v30
	v_lshrrev_b32_e32 v47, 16, v44
	;; [unrolled: 1-line block ×3, first 2 shown]
	s_waitcnt vmcnt(4)
	v_mul_f16_sdwa v49, v0, v37 dst_sel:DWORD dst_unused:UNUSED_PAD src0_sel:WORD_1 src1_sel:DWORD
	v_mul_f16_sdwa v53, v0, v48 dst_sel:DWORD dst_unused:UNUSED_PAD src0_sel:WORD_1 src1_sel:DWORD
	;; [unrolled: 1-line block ×4, first 2 shown]
	v_fmac_f16_e32 v49, v0, v48
	v_mul_f16_sdwa v48, v1, v40 dst_sel:DWORD dst_unused:UNUSED_PAD src0_sel:WORD_1 src1_sel:DWORD
	v_fma_f16 v40, v1, v40, -v55
	v_fma_f16 v37, v0, v37, -v53
	v_fmac_f16_e32 v56, v2, v54
	v_fmac_f16_e32 v48, v1, v52
	v_mul_f16_sdwa v52, v2, v54 dst_sel:DWORD dst_unused:UNUSED_PAD src0_sel:WORD_1 src1_sel:DWORD
	s_waitcnt vmcnt(3)
	v_mul_f16_sdwa v1, v46, v5 dst_sel:DWORD dst_unused:UNUSED_PAD src0_sel:DWORD src1_sel:WORD_1
	v_mul_f16_sdwa v0, v3, v57 dst_sel:DWORD dst_unused:UNUSED_PAD src0_sel:WORD_1 src1_sel:DWORD
	v_mul_f16_sdwa v54, v29, v4 dst_sel:DWORD dst_unused:UNUSED_PAD src0_sel:DWORD src1_sel:WORD_1
	v_fma_f16 v31, v2, v31, -v52
	v_fma_f16 v55, v32, v5, -v1
	ds_read2_b32 v[1:2], v21 offset0:40 offset1:240
	v_fma_f16 v53, v3, v38, -v0
	v_mul_f16_sdwa v0, v27, v4 dst_sel:DWORD dst_unused:UNUSED_PAD src0_sel:DWORD src1_sel:WORD_1
	v_mul_f16_sdwa v32, v32, v5 dst_sel:DWORD dst_unused:UNUSED_PAD src0_sel:DWORD src1_sel:WORD_1
	v_lshrrev_b32_e32 v52, 16, v45
	v_mul_f16_sdwa v38, v3, v38 dst_sel:DWORD dst_unused:UNUSED_PAD src0_sel:WORD_1 src1_sel:DWORD
	v_fmac_f16_e32 v54, v27, v4
	v_fma_f16 v21, v29, v4, -v0
	s_waitcnt vmcnt(2)
	v_mul_f16_sdwa v0, v50, v7 dst_sel:DWORD dst_unused:UNUSED_PAD src0_sel:DWORD src1_sel:WORD_1
	v_mul_f16_sdwa v4, v44, v6 dst_sel:DWORD dst_unused:UNUSED_PAD src0_sel:DWORD src1_sel:WORD_1
	v_fmac_f16_e32 v32, v46, v5
	v_mul_f16_sdwa v5, v30, v7 dst_sel:DWORD dst_unused:UNUSED_PAD src0_sel:DWORD src1_sel:WORD_1
	v_mul_f16_sdwa v27, v47, v6 dst_sel:DWORD dst_unused:UNUSED_PAD src0_sel:DWORD src1_sel:WORD_1
	v_fma_f16 v29, v30, v7, -v0
	v_lshl_add_u32 v0, v25, 2, 0
	v_fmac_f16_e32 v38, v3, v57
	v_lshrrev_b32_e32 v3, 16, v43
	v_fmac_f16_e32 v4, v47, v6
	v_fmac_f16_e32 v5, v50, v7
	v_mul_f16_sdwa v7, v42, v8 dst_sel:DWORD dst_unused:UNUSED_PAD src0_sel:DWORD src1_sel:WORD_1
	v_mul_f16_sdwa v30, v51, v8 dst_sel:DWORD dst_unused:UNUSED_PAD src0_sel:DWORD src1_sel:WORD_1
	ds_read_b32 v46, v41
	ds_read_b32 v47, v0
	ds_read_b32 v50, v35
	ds_read_b32 v57, v36
	ds_read_b32 v58, v33 offset:15200
	v_fma_f16 v6, v44, v6, -v27
	s_waitcnt vmcnt(1)
	v_mul_f16_sdwa v27, v52, v9 dst_sel:DWORD dst_unused:UNUSED_PAD src0_sel:DWORD src1_sel:WORD_1
	v_fmac_f16_e32 v7, v51, v8
	v_fma_f16 v8, v42, v8, -v30
	v_mul_f16_sdwa v30, v3, v11 dst_sel:DWORD dst_unused:UNUSED_PAD src0_sel:DWORD src1_sel:WORD_1
	s_waitcnt lgkmcnt(5)
	v_lshrrev_b32_e32 v42, 16, v1
	v_fma_f16 v27, v45, v9, -v27
	v_mul_f16_sdwa v44, v45, v9 dst_sel:DWORD dst_unused:UNUSED_PAD src0_sel:DWORD src1_sel:WORD_1
	v_mul_f16_sdwa v45, v1, v10 dst_sel:DWORD dst_unused:UNUSED_PAD src0_sel:DWORD src1_sel:WORD_1
	v_fma_f16 v30, v43, v11, -v30
	v_mul_f16_sdwa v43, v43, v11 dst_sel:DWORD dst_unused:UNUSED_PAD src0_sel:DWORD src1_sel:WORD_1
	v_lshrrev_b32_e32 v51, 16, v39
	v_fmac_f16_e32 v44, v52, v9
	v_mul_f16_sdwa v9, v42, v10 dst_sel:DWORD dst_unused:UNUSED_PAD src0_sel:DWORD src1_sel:WORD_1
	v_fmac_f16_e32 v45, v42, v10
	v_lshrrev_b32_e32 v42, 16, v2
	v_fmac_f16_e32 v43, v3, v11
	s_waitcnt vmcnt(0)
	v_mul_f16_sdwa v3, v51, v12 dst_sel:DWORD dst_unused:UNUSED_PAD src0_sel:DWORD src1_sel:WORD_1
	v_fma_f16 v1, v1, v10, -v9
	v_mul_f16_sdwa v9, v39, v12 dst_sel:DWORD dst_unused:UNUSED_PAD src0_sel:DWORD src1_sel:WORD_1
	v_mul_f16_sdwa v11, v42, v13 dst_sel:DWORD dst_unused:UNUSED_PAD src0_sel:DWORD src1_sel:WORD_1
	s_waitcnt lgkmcnt(0)
	v_lshrrev_b32_e32 v10, 16, v58
	v_fma_f16 v3, v39, v12, -v3
	v_mul_f16_sdwa v39, v2, v13 dst_sel:DWORD dst_unused:UNUSED_PAD src0_sel:DWORD src1_sel:WORD_1
	v_sub_f16_e32 v31, v37, v31
	v_fma_f16 v2, v2, v13, -v11
	v_sub_f16_e32 v11, v15, v40
	v_fmac_f16_e32 v9, v51, v12
	v_lshrrev_b32_e32 v12, 16, v15
	v_mul_f16_sdwa v40, v10, v14 dst_sel:DWORD dst_unused:UNUSED_PAD src0_sel:DWORD src1_sel:WORD_1
	v_fma_f16 v37, v37, 2.0, -v31
	v_fma_f16 v15, v15, 2.0, -v11
	v_sub_f16_e32 v51, v49, v56
	v_sub_f16_e32 v48, v12, v48
	v_mul_f16_sdwa v52, v58, v14 dst_sel:DWORD dst_unused:UNUSED_PAD src0_sel:DWORD src1_sel:WORD_1
	v_fmac_f16_e32 v39, v42, v13
	v_sub_f16_e32 v13, v15, v37
	v_fma_f16 v37, v58, v14, -v40
	v_sub_f16_e32 v40, v53, v55
	v_fma_f16 v12, v12, 2.0, -v48
	v_fma_f16 v49, v49, 2.0, -v51
	v_fmac_f16_e32 v52, v10, v14
	v_lshrrev_b32_e32 v14, 16, v46
	v_sub_f16_e32 v42, v11, v51
	v_fma_f16 v51, v53, 2.0, -v40
	v_lshrrev_b32_e32 v53, 16, v57
	v_sub_f16_e32 v10, v12, v49
	v_sub_f16_e32 v21, v46, v21
	;; [unrolled: 1-line block ×4, first 2 shown]
	v_lshrrev_b32_e32 v55, 16, v47
	v_sub_f16_e32 v29, v57, v29
	v_sub_f16_e32 v8, v6, v8
	;; [unrolled: 1-line block ×4, first 2 shown]
	v_fma_f16 v46, v46, 2.0, -v21
	v_fma_f16 v14, v14, 2.0, -v49
	;; [unrolled: 1-line block ×3, first 2 shown]
	v_lshrrev_b32_e32 v56, 16, v50
	v_add_f16_e32 v31, v48, v31
	v_sub_f16_e32 v1, v47, v1
	v_sub_f16_e32 v30, v27, v30
	;; [unrolled: 1-line block ×4, first 2 shown]
	v_fma_f16 v54, v57, 2.0, -v29
	v_fma_f16 v6, v6, 2.0, -v8
	;; [unrolled: 1-line block ×4, first 2 shown]
	v_sub_f16_e32 v51, v46, v51
	v_sub_f16_e32 v38, v14, v38
	v_fma_f16 v15, v15, 2.0, -v13
	v_fma_f16 v12, v12, 2.0, -v10
	v_sub_f16_e32 v32, v21, v32
	v_add_f16_e32 v40, v49, v40
	v_sub_f16_e32 v2, v50, v2
	v_sub_f16_e32 v39, v56, v39
	;; [unrolled: 1-line block ×4, first 2 shown]
	v_fma_f16 v11, v11, 2.0, -v42
	v_fma_f16 v48, v48, 2.0, -v31
	;; [unrolled: 1-line block ×6, first 2 shown]
	v_sub_f16_e32 v6, v54, v6
	v_sub_f16_e32 v4, v53, v4
	v_fma_f16 v46, v46, 2.0, -v51
	v_fma_f16 v14, v14, 2.0, -v38
	v_sub_f16_e32 v7, v29, v7
	v_add_f16_e32 v8, v5, v8
	v_fma_f16 v21, v21, 2.0, -v32
	v_fma_f16 v49, v49, 2.0, -v40
	;; [unrolled: 1-line block ×6, first 2 shown]
	v_pack_b32_f16 v12, v15, v12
	v_sub_f16_e32 v27, v47, v27
	v_sub_f16_e32 v44, v55, v44
	v_pack_b32_f16 v11, v11, v48
	v_sub_f16_e32 v43, v1, v43
	v_add_f16_e32 v30, v45, v30
	v_pack_b32_f16 v10, v13, v10
	v_fma_f16 v54, v54, 2.0, -v6
	v_fma_f16 v53, v53, 2.0, -v4
	v_pack_b32_f16 v13, v42, v31
	v_fma_f16 v29, v29, 2.0, -v7
	v_fma_f16 v5, v5, 2.0, -v8
	v_pack_b32_f16 v14, v46, v14
	v_sub_f16_e32 v3, v50, v3
	v_sub_f16_e32 v9, v56, v9
	s_barrier
	buffer_gl0_inv
	ds_write_b32 v33, v12
	ds_write_b32 v33, v11 offset:4000
	ds_write_b32 v33, v10 offset:8000
	;; [unrolled: 1-line block ×3, first 2 shown]
	ds_write_b32 v41, v14
	v_pack_b32_f16 v10, v21, v49
	v_fma_f16 v47, v47, 2.0, -v27
	v_fma_f16 v55, v55, 2.0, -v44
	v_sub_f16_e32 v52, v2, v52
	v_add_f16_e32 v37, v39, v37
	v_pack_b32_f16 v11, v51, v38
	v_fma_f16 v1, v1, 2.0, -v43
	v_fma_f16 v45, v45, 2.0, -v30
	v_pack_b32_f16 v12, v32, v40
	v_pack_b32_f16 v13, v54, v53
	;; [unrolled: 1-line block ×4, first 2 shown]
	v_fma_f16 v50, v50, 2.0, -v3
	v_fma_f16 v56, v56, 2.0, -v9
	ds_write_b32 v41, v10 offset:4000
	ds_write_b32 v41, v11 offset:8000
	;; [unrolled: 1-line block ×3, first 2 shown]
	ds_write_b32 v36, v13
	ds_write_b32 v36, v5 offset:4000
	v_pack_b32_f16 v5, v7, v8
	v_fma_f16 v2, v2, 2.0, -v52
	v_fma_f16 v39, v39, 2.0, -v37
	v_pack_b32_f16 v6, v47, v55
	v_pack_b32_f16 v1, v1, v45
	;; [unrolled: 1-line block ×3, first 2 shown]
	ds_write_b32 v36, v4 offset:8000
	ds_write_b32 v36, v5 offset:12000
	ds_write_b32 v0, v6
	ds_write_b32 v0, v1 offset:4000
	ds_write_b32 v0, v7 offset:8000
	v_pack_b32_f16 v1, v43, v30
	v_pack_b32_f16 v4, v50, v56
	;; [unrolled: 1-line block ×5, first 2 shown]
	ds_write_b32 v0, v1 offset:12000
	ds_write_b32 v35, v4
	ds_write_b32 v35, v2 offset:4000
	ds_write_b32 v35, v3 offset:8000
	;; [unrolled: 1-line block ×3, first 2 shown]
	s_waitcnt lgkmcnt(0)
	s_barrier
	buffer_gl0_inv
	ds_read_b32 v6, v33
	v_sub_nc_u32_e32 v1, 0, v19
                                        ; implicit-def: $vgpr3
                                        ; implicit-def: $vgpr2
                                        ; implicit-def: $vgpr4
	v_cmpx_ne_u32_e32 0, v18
	s_xor_b32 s5, exec_lo, s5
	s_cbranch_execz .LBB0_15
; %bb.14:
	v_mov_b32_e32 v19, v28
	v_lshlrev_b64 v[2:3], 2, v[18:19]
	v_add_co_u32 v2, s0, s1, v2
	v_add_co_ci_u32_e64 v3, s0, s4, v3, s0
	global_load_dword v2, v[2:3], off
	ds_read_b32 v3, v1 offset:16000
	s_waitcnt lgkmcnt(0)
	v_pk_add_f16 v4, v6, v3 neg_lo:[0,1] neg_hi:[0,1]
	v_pk_add_f16 v3, v3, v6
	v_bfi_b32 v5, 0xffff, v4, v3
	v_bfi_b32 v3, 0xffff, v3, v4
	v_pk_mul_f16 v5, v5, 0.5 op_sel_hi:[1,0]
	v_pk_mul_f16 v6, v3, 0.5 op_sel_hi:[1,0]
	s_waitcnt vmcnt(0)
	v_pk_mul_f16 v4, v2, v5 op_sel:[1,0]
	v_pk_mul_f16 v5, v2, v5 op_sel_hi:[0,1]
	v_pk_fma_f16 v2, v3, 0.5, v4 op_sel_hi:[1,0,1]
	v_sub_f16_e32 v3, v6, v4
	v_sub_f16_sdwa v4, v4, v6 dst_sel:DWORD dst_unused:UNUSED_PAD src0_sel:WORD_1 src1_sel:WORD_1
                                        ; implicit-def: $vgpr6
	v_pk_add_f16 v7, v2, v5 op_sel:[0,1] op_sel_hi:[1,0]
	v_pk_add_f16 v8, v2, v5 op_sel:[0,1] op_sel_hi:[1,0] neg_lo:[0,1] neg_hi:[0,1]
	v_sub_f16_sdwa v2, v3, v5 dst_sel:DWORD dst_unused:UNUSED_PAD src0_sel:DWORD src1_sel:WORD_1
	v_sub_f16_e32 v4, v4, v5
	v_bfi_b32 v3, 0xffff, v7, v8
.LBB0_15:
	s_or_saveexec_b32 s0, s5
	v_mul_i32_i24_e32 v5, 0xffffffdc, v20
	s_xor_b32 exec_lo, exec_lo, s0
	s_cbranch_execz .LBB0_17
; %bb.16:
	v_mov_b32_e32 v4, 0
	s_waitcnt lgkmcnt(0)
	v_alignbit_b32 v2, s0, v6, 16
	ds_read_u16 v3, v4 offset:8002
	v_pk_add_f16 v7, v2, v6
	v_sub_f16_sdwa v2, v6, v6 dst_sel:DWORD dst_unused:UNUSED_PAD src0_sel:DWORD src1_sel:WORD_1
	s_waitcnt lgkmcnt(0)
	v_xor_b32_e32 v6, 0x8000, v3
	v_pack_b32_f16 v3, v7, 0
	ds_write_b16 v4, v6 offset:8002
.LBB0_17:
	s_or_b32 exec_lo, exec_lo, s0
	v_mov_b32_e32 v21, 0
	ds_write_b16 v1, v4 offset:16002
	s_waitcnt lgkmcnt(1)
	v_lshlrev_b64 v[6:7], 2, v[20:21]
	v_mov_b32_e32 v27, v21
	v_add_nc_u32_e32 v20, 0x3e8, v18
	v_add_co_u32 v6, s0, s1, v6
	v_add_co_ci_u32_e64 v7, s0, s4, v7, s0
	global_load_dword v8, v[6:7], off
	v_lshlrev_b64 v[6:7], 2, v[26:27]
	v_mov_b32_e32 v26, v21
	v_add_co_u32 v6, s0, s1, v6
	v_add_co_ci_u32_e64 v7, s0, s4, v7, s0
	global_load_dword v9, v[6:7], off
	v_lshlrev_b64 v[6:7], 2, v[25:26]
	v_mov_b32_e32 v25, v21
	v_add_co_u32 v6, s0, s1, v6
	v_add_co_ci_u32_e64 v7, s0, s4, v7, s0
	global_load_dword v10, v[6:7], off
	v_lshlrev_b64 v[6:7], 2, v[24:25]
	v_add_co_u32 v6, s0, s1, v6
	v_add_co_ci_u32_e64 v7, s0, s4, v7, s0
	global_load_dword v11, v[6:7], off
	v_lshlrev_b64 v[6:7], 2, v[20:21]
	v_add_nc_u32_e32 v20, 0x4b0, v18
	v_add_co_u32 v6, s0, s1, v6
	v_add_co_ci_u32_e64 v7, s0, s4, v7, s0
	global_load_dword v6, v[6:7], off
	v_add_nc_u32_e32 v7, v34, v5
	v_lshlrev_b64 v[4:5], 2, v[20:21]
	ds_write_b32 v33, v3
	ds_write_b16 v1, v2 offset:16000
	ds_read_b32 v12, v1 offset:15200
	ds_read_b32 v13, v7
	v_add_nc_u32_e32 v20, 0x578, v18
	v_add_co_u32 v2, s0, s1, v4
	v_add_co_ci_u32_e64 v3, s0, s4, v5, s0
	global_load_dword v14, v[2:3], off
	s_waitcnt lgkmcnt(0)
	v_pk_add_f16 v2, v13, v12 neg_lo:[0,1] neg_hi:[0,1]
	v_pk_add_f16 v3, v13, v12
	v_bfi_b32 v4, 0xffff, v2, v3
	v_bfi_b32 v2, 0xffff, v3, v2
	v_pk_mul_f16 v3, v4, 0.5 op_sel_hi:[1,0]
	v_pk_mul_f16 v2, v2, 0.5 op_sel_hi:[1,0]
	s_waitcnt vmcnt(5)
	v_pk_fma_f16 v4, v8, v3, v2 op_sel:[1,0,0]
	v_pk_mul_f16 v5, v8, v3 op_sel_hi:[0,1]
	v_pk_fma_f16 v12, v8, v3, v2 op_sel:[1,0,0] neg_lo:[1,0,0] neg_hi:[1,0,0]
	v_pk_fma_f16 v2, v8, v3, v2 op_sel:[1,0,0] neg_lo:[0,0,1] neg_hi:[0,0,1]
	v_pk_add_f16 v3, v4, v5 op_sel:[0,1] op_sel_hi:[1,0]
	v_pk_add_f16 v4, v4, v5 op_sel:[0,1] op_sel_hi:[1,0] neg_lo:[0,1] neg_hi:[0,1]
	v_pk_add_f16 v8, v12, v5 op_sel:[0,1] op_sel_hi:[1,0] neg_lo:[0,1] neg_hi:[0,1]
	;; [unrolled: 1-line block ×3, first 2 shown]
	v_bfi_b32 v4, 0xffff, v3, v4
	v_bfi_b32 v5, 0xffff, v8, v2
	v_lshlrev_b64 v[2:3], 2, v[20:21]
	ds_write_b32 v7, v4
	ds_write_b32 v1, v5 offset:15200
	ds_read_b32 v7, v36
	ds_read_b32 v8, v1 offset:14400
	v_add_nc_u32_e32 v20, 0x640, v18
	v_add_co_u32 v2, s0, s1, v2
	v_add_co_ci_u32_e64 v3, s0, s4, v3, s0
	global_load_dword v12, v[2:3], off
	v_lshlrev_b64 v[2:3], 2, v[20:21]
	v_add_nc_u32_e32 v20, 0x708, v18
	v_lshlrev_b64 v[4:5], 2, v[20:21]
	v_add_co_u32 v2, s0, s1, v2
	v_add_co_ci_u32_e64 v3, s0, s4, v3, s0
	s_waitcnt lgkmcnt(0)
	v_pk_add_f16 v13, v7, v8 neg_lo:[0,1] neg_hi:[0,1]
	v_pk_add_f16 v7, v7, v8
	v_add_co_u32 v4, s0, s1, v4
	v_add_co_ci_u32_e64 v5, s0, s4, v5, s0
	v_bfi_b32 v8, 0xffff, v13, v7
	v_bfi_b32 v7, 0xffff, v7, v13
	s_clause 0x1
	global_load_dword v2, v[2:3], off
	global_load_dword v3, v[4:5], off
	v_pk_mul_f16 v8, v8, 0.5 op_sel_hi:[1,0]
	v_pk_mul_f16 v7, v7, 0.5 op_sel_hi:[1,0]
	s_waitcnt vmcnt(7)
	v_pk_mul_f16 v5, v9, v8 op_sel_hi:[0,1]
	v_pk_fma_f16 v4, v9, v8, v7 op_sel:[1,0,0]
	v_pk_fma_f16 v13, v9, v8, v7 op_sel:[1,0,0] neg_lo:[1,0,0] neg_hi:[1,0,0]
	v_pk_fma_f16 v7, v9, v8, v7 op_sel:[1,0,0] neg_lo:[0,0,1] neg_hi:[0,0,1]
	v_pk_add_f16 v8, v4, v5 op_sel:[0,1] op_sel_hi:[1,0]
	v_pk_add_f16 v4, v4, v5 op_sel:[0,1] op_sel_hi:[1,0] neg_lo:[0,1] neg_hi:[0,1]
	v_pk_add_f16 v9, v13, v5 op_sel:[0,1] op_sel_hi:[1,0] neg_lo:[0,1] neg_hi:[0,1]
	;; [unrolled: 1-line block ×3, first 2 shown]
	v_bfi_b32 v4, 0xffff, v8, v4
	v_bfi_b32 v5, 0xffff, v9, v5
	ds_write_b32 v36, v4
	ds_write_b32 v1, v5 offset:14400
	ds_read_b32 v4, v0
	ds_read_b32 v5, v1 offset:13600
	s_waitcnt lgkmcnt(0)
	v_pk_add_f16 v7, v4, v5 neg_lo:[0,1] neg_hi:[0,1]
	v_pk_add_f16 v4, v4, v5
	v_bfi_b32 v5, 0xffff, v7, v4
	v_bfi_b32 v4, 0xffff, v4, v7
	v_pk_mul_f16 v5, v5, 0.5 op_sel_hi:[1,0]
	v_pk_mul_f16 v4, v4, 0.5 op_sel_hi:[1,0]
	s_waitcnt vmcnt(6)
	v_pk_mul_f16 v8, v10, v5 op_sel_hi:[0,1]
	v_pk_fma_f16 v7, v10, v5, v4 op_sel:[1,0,0]
	v_pk_fma_f16 v9, v10, v5, v4 op_sel:[1,0,0] neg_lo:[1,0,0] neg_hi:[1,0,0]
	v_pk_fma_f16 v4, v10, v5, v4 op_sel:[1,0,0] neg_lo:[0,0,1] neg_hi:[0,0,1]
	v_pk_add_f16 v5, v7, v8 op_sel:[0,1] op_sel_hi:[1,0]
	v_pk_add_f16 v7, v7, v8 op_sel:[0,1] op_sel_hi:[1,0] neg_lo:[0,1] neg_hi:[0,1]
	v_pk_add_f16 v9, v9, v8 op_sel:[0,1] op_sel_hi:[1,0] neg_lo:[0,1] neg_hi:[0,1]
	;; [unrolled: 1-line block ×3, first 2 shown]
	v_bfi_b32 v5, 0xffff, v5, v7
	v_bfi_b32 v4, 0xffff, v9, v4
	ds_write_b32 v0, v5
	ds_write_b32 v1, v4 offset:13600
	ds_read_b32 v0, v35
	ds_read_b32 v4, v1 offset:12800
	s_waitcnt lgkmcnt(0)
	v_pk_add_f16 v5, v0, v4 neg_lo:[0,1] neg_hi:[0,1]
	v_pk_add_f16 v0, v0, v4
	v_bfi_b32 v4, 0xffff, v5, v0
	v_bfi_b32 v0, 0xffff, v0, v5
	v_pk_mul_f16 v4, v4, 0.5 op_sel_hi:[1,0]
	v_pk_mul_f16 v0, v0, 0.5 op_sel_hi:[1,0]
	s_waitcnt vmcnt(5)
	v_pk_mul_f16 v7, v11, v4 op_sel_hi:[0,1]
	v_pk_fma_f16 v5, v11, v4, v0 op_sel:[1,0,0]
	v_pk_fma_f16 v8, v11, v4, v0 op_sel:[1,0,0] neg_lo:[1,0,0] neg_hi:[1,0,0]
	v_pk_fma_f16 v0, v11, v4, v0 op_sel:[1,0,0] neg_lo:[0,0,1] neg_hi:[0,0,1]
	v_pk_add_f16 v4, v5, v7 op_sel:[0,1] op_sel_hi:[1,0]
	v_pk_add_f16 v5, v5, v7 op_sel:[0,1] op_sel_hi:[1,0] neg_lo:[0,1] neg_hi:[0,1]
	v_pk_add_f16 v8, v8, v7 op_sel:[0,1] op_sel_hi:[1,0] neg_lo:[0,1] neg_hi:[0,1]
	;; [unrolled: 1-line block ×3, first 2 shown]
	v_bfi_b32 v4, 0xffff, v4, v5
	v_bfi_b32 v0, 0xffff, v8, v0
	ds_write_b32 v35, v4
	ds_write_b32 v1, v0 offset:12800
	ds_read_b32 v0, v33 offset:4000
	ds_read_b32 v4, v1 offset:12000
	s_waitcnt lgkmcnt(0)
	v_pk_add_f16 v5, v0, v4 neg_lo:[0,1] neg_hi:[0,1]
	v_pk_add_f16 v0, v0, v4
	v_bfi_b32 v4, 0xffff, v5, v0
	v_bfi_b32 v0, 0xffff, v0, v5
	v_pk_mul_f16 v4, v4, 0.5 op_sel_hi:[1,0]
	v_pk_mul_f16 v7, v0, 0.5 op_sel_hi:[1,0]
	s_waitcnt vmcnt(4)
	v_pk_mul_f16 v5, v6, v4 op_sel:[1,0]
	v_pk_mul_f16 v4, v6, v4 op_sel_hi:[0,1]
	v_pk_fma_f16 v0, v0, 0.5, v5 op_sel_hi:[1,0,1]
	v_sub_f16_sdwa v6, v5, v7 dst_sel:DWORD dst_unused:UNUSED_PAD src0_sel:WORD_1 src1_sel:WORD_1
	v_sub_f16_e32 v5, v7, v5
	v_pk_add_f16 v8, v0, v4 op_sel:[0,1] op_sel_hi:[1,0]
	v_pk_add_f16 v0, v0, v4 op_sel:[0,1] op_sel_hi:[1,0] neg_lo:[0,1] neg_hi:[0,1]
	v_sub_f16_e32 v6, v6, v4
	v_sub_f16_sdwa v4, v5, v4 dst_sel:DWORD dst_unused:UNUSED_PAD src0_sel:DWORD src1_sel:WORD_1
	v_bfi_b32 v0, 0xffff, v8, v0
	ds_write_b16 v1, v6 offset:12002
	ds_write_b32 v33, v0 offset:4000
	ds_write_b16 v1, v4 offset:12000
	ds_read_b32 v0, v33 offset:4800
	ds_read_b32 v4, v1 offset:11200
	s_waitcnt lgkmcnt(0)
	v_pk_add_f16 v5, v0, v4 neg_lo:[0,1] neg_hi:[0,1]
	v_pk_add_f16 v0, v0, v4
	v_bfi_b32 v4, 0xffff, v5, v0
	v_bfi_b32 v0, 0xffff, v0, v5
	v_pk_mul_f16 v4, v4, 0.5 op_sel_hi:[1,0]
	v_pk_mul_f16 v6, v0, 0.5 op_sel_hi:[1,0]
	s_waitcnt vmcnt(3)
	v_pk_mul_f16 v5, v14, v4 op_sel:[1,0]
	v_pk_mul_f16 v4, v14, v4 op_sel_hi:[0,1]
	v_pk_fma_f16 v0, v0, 0.5, v5 op_sel_hi:[1,0,1]
	v_sub_f16_sdwa v7, v5, v6 dst_sel:DWORD dst_unused:UNUSED_PAD src0_sel:WORD_1 src1_sel:WORD_1
	v_sub_f16_e32 v5, v6, v5
	v_pk_add_f16 v8, v0, v4 op_sel:[0,1] op_sel_hi:[1,0]
	v_pk_add_f16 v0, v0, v4 op_sel:[0,1] op_sel_hi:[1,0] neg_lo:[0,1] neg_hi:[0,1]
	v_sub_f16_e32 v6, v7, v4
	v_sub_f16_sdwa v4, v5, v4 dst_sel:DWORD dst_unused:UNUSED_PAD src0_sel:DWORD src1_sel:WORD_1
	v_bfi_b32 v0, 0xffff, v8, v0
	ds_write_b16 v1, v6 offset:11202
	ds_write_b32 v33, v0 offset:4800
	ds_write_b16 v1, v4 offset:11200
	;; [unrolled: 23-line block ×4, first 2 shown]
	ds_read_b32 v0, v33 offset:7200
	ds_read_b32 v2, v1 offset:8800
	s_waitcnt lgkmcnt(0)
	v_pk_add_f16 v4, v0, v2 neg_lo:[0,1] neg_hi:[0,1]
	v_pk_add_f16 v0, v0, v2
	v_bfi_b32 v2, 0xffff, v4, v0
	v_bfi_b32 v0, 0xffff, v0, v4
	v_pk_mul_f16 v2, v2, 0.5 op_sel_hi:[1,0]
	v_pk_mul_f16 v0, v0, 0.5 op_sel_hi:[1,0]
	s_waitcnt vmcnt(0)
	v_pk_mul_f16 v5, v3, v2 op_sel_hi:[0,1]
	v_pk_fma_f16 v4, v3, v2, v0 op_sel:[1,0,0]
	v_pk_fma_f16 v6, v3, v2, v0 op_sel:[1,0,0] neg_lo:[1,0,0] neg_hi:[1,0,0]
	v_pk_fma_f16 v0, v3, v2, v0 op_sel:[1,0,0] neg_lo:[0,0,1] neg_hi:[0,0,1]
	v_pk_add_f16 v2, v4, v5 op_sel:[0,1] op_sel_hi:[1,0]
	v_pk_add_f16 v3, v4, v5 op_sel:[0,1] op_sel_hi:[1,0] neg_lo:[0,1] neg_hi:[0,1]
	v_pk_add_f16 v4, v6, v5 op_sel:[0,1] op_sel_hi:[1,0] neg_lo:[0,1] neg_hi:[0,1]
	;; [unrolled: 1-line block ×3, first 2 shown]
	v_bfi_b32 v2, 0xffff, v2, v3
	v_bfi_b32 v0, 0xffff, v4, v0
	ds_write_b32 v33, v2 offset:7200
	ds_write_b32 v1, v0 offset:8800
	s_waitcnt lgkmcnt(0)
	s_barrier
	buffer_gl0_inv
	s_and_saveexec_b32 s0, vcc_lo
	s_cbranch_execz .LBB0_20
; %bb.18:
	v_mul_lo_u32 v2, s3, v22
	v_mul_lo_u32 v3, s2, v23
	v_mad_u64_u32 v[0:1], null, s2, v22, 0
	v_mov_b32_e32 v19, v21
	v_lshl_add_u32 v22, v18, 2, 0
	v_add_nc_u32_e32 v20, 0xc8, v18
	v_lshlrev_b64 v[6:7], 2, v[18:19]
	v_add3_u32 v1, v1, v3, v2
	v_lshlrev_b64 v[2:3], 2, v[16:17]
	ds_read2_b32 v[4:5], v22 offset1:200
	v_lshlrev_b64 v[8:9], 2, v[20:21]
	v_add_nc_u32_e32 v10, 0x600, v22
	v_lshlrev_b64 v[0:1], 2, v[0:1]
	v_add_nc_u32_e32 v20, 0x190, v18
	v_add_nc_u32_e32 v14, 0x1900, v22
	v_add_co_u32 v0, vcc_lo, s10, v0
	v_add_co_ci_u32_e32 v1, vcc_lo, s11, v1, vcc_lo
	v_add_co_u32 v0, vcc_lo, v0, v2
	v_add_co_ci_u32_e32 v1, vcc_lo, v1, v3, vcc_lo
	;; [unrolled: 2-line block ×4, first 2 shown]
	ds_read2_b32 v[8:9], v10 offset0:16 offset1:216
	v_lshlrev_b64 v[10:11], 2, v[20:21]
	v_add_nc_u32_e32 v20, 0x258, v18
	s_waitcnt lgkmcnt(1)
	global_store_dword v[2:3], v4, off
	global_store_dword v[6:7], v5, off
	v_lshlrev_b64 v[2:3], 2, v[20:21]
	v_add_co_u32 v4, vcc_lo, v0, v10
	v_add_co_ci_u32_e32 v5, vcc_lo, v1, v11, vcc_lo
	v_add_nc_u32_e32 v20, 0x320, v18
	v_add_co_u32 v2, vcc_lo, v0, v2
	v_add_co_ci_u32_e32 v3, vcc_lo, v1, v3, vcc_lo
	v_add_nc_u32_e32 v10, 0xc00, v22
	v_lshlrev_b64 v[6:7], 2, v[20:21]
	v_add_nc_u32_e32 v20, 0x3e8, v18
	s_waitcnt lgkmcnt(0)
	global_store_dword v[4:5], v8, off
	v_add_nc_u32_e32 v8, 0x1200, v22
	global_store_dword v[2:3], v9, off
	ds_read2_b32 v[2:3], v10 offset0:32 offset1:232
	v_lshlrev_b64 v[4:5], 2, v[20:21]
	v_add_nc_u32_e32 v20, 0x4b0, v18
	ds_read2_b32 v[8:9], v8 offset0:48 offset1:248
	v_add_co_u32 v6, vcc_lo, v0, v6
	v_add_co_ci_u32_e32 v7, vcc_lo, v1, v7, vcc_lo
	v_lshlrev_b64 v[10:11], 2, v[20:21]
	v_add_co_u32 v4, vcc_lo, v0, v4
	v_add_co_ci_u32_e32 v5, vcc_lo, v1, v5, vcc_lo
	v_add_nc_u32_e32 v20, 0x578, v18
	v_add_co_u32 v10, vcc_lo, v0, v10
	v_add_co_ci_u32_e32 v11, vcc_lo, v1, v11, vcc_lo
	v_lshlrev_b64 v[12:13], 2, v[20:21]
	v_add_nc_u32_e32 v20, 0x640, v18
	s_waitcnt lgkmcnt(1)
	global_store_dword v[6:7], v2, off
	global_store_dword v[4:5], v3, off
	s_waitcnt lgkmcnt(0)
	global_store_dword v[10:11], v8, off
	ds_read2_b32 v[2:3], v14 offset1:200
	v_add_nc_u32_e32 v8, 0x1f00, v22
	v_lshlrev_b64 v[4:5], 2, v[20:21]
	v_add_nc_u32_e32 v20, 0x708, v18
	v_add_co_u32 v6, vcc_lo, v0, v12
	v_add_co_ci_u32_e32 v7, vcc_lo, v1, v13, vcc_lo
	v_lshlrev_b64 v[10:11], 2, v[20:21]
	v_add_co_u32 v4, vcc_lo, v0, v4
	v_add_co_ci_u32_e32 v5, vcc_lo, v1, v5, vcc_lo
	v_add_nc_u32_e32 v20, 0x7d0, v18
	v_add_co_u32 v10, vcc_lo, v0, v10
	v_add_co_ci_u32_e32 v11, vcc_lo, v1, v11, vcc_lo
	v_lshlrev_b64 v[12:13], 2, v[20:21]
	v_add_nc_u32_e32 v20, 0x898, v18
	global_store_dword v[6:7], v9, off
	s_waitcnt lgkmcnt(0)
	global_store_dword v[4:5], v2, off
	global_store_dword v[10:11], v3, off
	ds_read2_b32 v[2:3], v8 offset0:16 offset1:216
	v_add_nc_u32_e32 v8, 0x2500, v22
	v_add_nc_u32_e32 v14, 0x2b00, v22
	v_lshlrev_b64 v[4:5], 2, v[20:21]
	v_add_nc_u32_e32 v20, 0x960, v18
	v_add_co_u32 v6, vcc_lo, v0, v12
	ds_read2_b32 v[8:9], v8 offset0:32 offset1:232
	v_add_co_ci_u32_e32 v7, vcc_lo, v1, v13, vcc_lo
	v_lshlrev_b64 v[10:11], 2, v[20:21]
	v_add_nc_u32_e32 v20, 0xa28, v18
	v_add_co_u32 v4, vcc_lo, v0, v4
	ds_read2_b32 v[14:15], v14 offset0:48 offset1:248
	v_add_co_ci_u32_e32 v5, vcc_lo, v1, v5, vcc_lo
	v_lshlrev_b64 v[12:13], 2, v[20:21]
	v_add_nc_u32_e32 v20, 0xaf0, v18
	v_add_co_u32 v10, vcc_lo, v0, v10
	v_add_co_ci_u32_e32 v11, vcc_lo, v1, v11, vcc_lo
	v_lshlrev_b64 v[16:17], 2, v[20:21]
	v_add_nc_u32_e32 v20, 0xbb8, v18
	v_add_co_u32 v12, vcc_lo, v0, v12
	v_add_co_ci_u32_e32 v13, vcc_lo, v1, v13, vcc_lo
	s_waitcnt lgkmcnt(2)
	global_store_dword v[6:7], v2, off
	global_store_dword v[4:5], v3, off
	s_waitcnt lgkmcnt(1)
	global_store_dword v[10:11], v8, off
	global_store_dword v[12:13], v9, off
	v_lshlrev_b64 v[2:3], 2, v[20:21]
	v_add_nc_u32_e32 v20, 0xc80, v18
	v_add_co_u32 v4, vcc_lo, v0, v16
	v_add_co_ci_u32_e32 v5, vcc_lo, v1, v17, vcc_lo
	v_lshlrev_b64 v[6:7], 2, v[20:21]
	v_add_nc_u32_e32 v20, 0xd48, v18
	v_add_co_u32 v2, vcc_lo, v0, v2
	v_add_co_ci_u32_e32 v3, vcc_lo, v1, v3, vcc_lo
	v_add_nc_u32_e32 v8, 0x3200, v22
	s_waitcnt lgkmcnt(0)
	global_store_dword v[4:5], v14, off
	v_lshlrev_b64 v[4:5], 2, v[20:21]
	v_add_nc_u32_e32 v20, 0xe10, v18
	v_add_nc_u32_e32 v9, 0x3800, v22
	global_store_dword v[2:3], v15, off
	ds_read2_b32 v[2:3], v8 offset1:200
	v_add_co_u32 v6, vcc_lo, v0, v6
	v_lshlrev_b64 v[10:11], 2, v[20:21]
	v_add_nc_u32_e32 v20, 0xed8, v18
	ds_read2_b32 v[8:9], v9 offset0:16 offset1:216
	v_add_co_ci_u32_e32 v7, vcc_lo, v1, v7, vcc_lo
	v_add_co_u32 v4, vcc_lo, v0, v4
	v_lshlrev_b64 v[12:13], 2, v[20:21]
	v_add_co_ci_u32_e32 v5, vcc_lo, v1, v5, vcc_lo
	v_add_co_u32 v10, vcc_lo, v0, v10
	v_add_co_ci_u32_e32 v11, vcc_lo, v1, v11, vcc_lo
	v_add_co_u32 v12, vcc_lo, v0, v12
	v_add_co_ci_u32_e32 v13, vcc_lo, v1, v13, vcc_lo
	v_cmp_eq_u32_e32 vcc_lo, 0xc7, v18
	s_waitcnt lgkmcnt(1)
	global_store_dword v[6:7], v2, off
	global_store_dword v[4:5], v3, off
	s_waitcnt lgkmcnt(0)
	global_store_dword v[10:11], v8, off
	global_store_dword v[12:13], v9, off
	s_and_b32 exec_lo, exec_lo, vcc_lo
	s_cbranch_execz .LBB0_20
; %bb.19:
	v_mov_b32_e32 v2, 0
	v_add_co_u32 v0, vcc_lo, 0x3800, v0
	v_add_co_ci_u32_e32 v1, vcc_lo, 0, v1, vcc_lo
	ds_read_b32 v2, v2 offset:16000
	s_waitcnt lgkmcnt(0)
	global_store_dword v[0:1], v2, off offset:1664
.LBB0_20:
	s_endpgm
	.section	.rodata,"a",@progbits
	.p2align	6, 0x0
	.amdhsa_kernel fft_rtc_fwd_len4000_factors_10_10_10_4_wgs_200_tpt_200_halfLds_half_op_CI_CI_unitstride_sbrr_R2C_dirReg
		.amdhsa_group_segment_fixed_size 0
		.amdhsa_private_segment_fixed_size 0
		.amdhsa_kernarg_size 104
		.amdhsa_user_sgpr_count 6
		.amdhsa_user_sgpr_private_segment_buffer 1
		.amdhsa_user_sgpr_dispatch_ptr 0
		.amdhsa_user_sgpr_queue_ptr 0
		.amdhsa_user_sgpr_kernarg_segment_ptr 1
		.amdhsa_user_sgpr_dispatch_id 0
		.amdhsa_user_sgpr_flat_scratch_init 0
		.amdhsa_user_sgpr_private_segment_size 0
		.amdhsa_wavefront_size32 1
		.amdhsa_uses_dynamic_stack 0
		.amdhsa_system_sgpr_private_segment_wavefront_offset 0
		.amdhsa_system_sgpr_workgroup_id_x 1
		.amdhsa_system_sgpr_workgroup_id_y 0
		.amdhsa_system_sgpr_workgroup_id_z 0
		.amdhsa_system_sgpr_workgroup_info 0
		.amdhsa_system_vgpr_workitem_id 0
		.amdhsa_next_free_vgpr 93
		.amdhsa_next_free_sgpr 27
		.amdhsa_reserve_vcc 1
		.amdhsa_reserve_flat_scratch 0
		.amdhsa_float_round_mode_32 0
		.amdhsa_float_round_mode_16_64 0
		.amdhsa_float_denorm_mode_32 3
		.amdhsa_float_denorm_mode_16_64 3
		.amdhsa_dx10_clamp 1
		.amdhsa_ieee_mode 1
		.amdhsa_fp16_overflow 0
		.amdhsa_workgroup_processor_mode 1
		.amdhsa_memory_ordered 1
		.amdhsa_forward_progress 0
		.amdhsa_shared_vgpr_count 0
		.amdhsa_exception_fp_ieee_invalid_op 0
		.amdhsa_exception_fp_denorm_src 0
		.amdhsa_exception_fp_ieee_div_zero 0
		.amdhsa_exception_fp_ieee_overflow 0
		.amdhsa_exception_fp_ieee_underflow 0
		.amdhsa_exception_fp_ieee_inexact 0
		.amdhsa_exception_int_div_zero 0
	.end_amdhsa_kernel
	.text
.Lfunc_end0:
	.size	fft_rtc_fwd_len4000_factors_10_10_10_4_wgs_200_tpt_200_halfLds_half_op_CI_CI_unitstride_sbrr_R2C_dirReg, .Lfunc_end0-fft_rtc_fwd_len4000_factors_10_10_10_4_wgs_200_tpt_200_halfLds_half_op_CI_CI_unitstride_sbrr_R2C_dirReg
                                        ; -- End function
	.section	.AMDGPU.csdata,"",@progbits
; Kernel info:
; codeLenInByte = 15572
; NumSgprs: 29
; NumVgprs: 93
; ScratchSize: 0
; MemoryBound: 0
; FloatMode: 240
; IeeeMode: 1
; LDSByteSize: 0 bytes/workgroup (compile time only)
; SGPRBlocks: 3
; VGPRBlocks: 11
; NumSGPRsForWavesPerEU: 29
; NumVGPRsForWavesPerEU: 93
; Occupancy: 10
; WaveLimiterHint : 1
; COMPUTE_PGM_RSRC2:SCRATCH_EN: 0
; COMPUTE_PGM_RSRC2:USER_SGPR: 6
; COMPUTE_PGM_RSRC2:TRAP_HANDLER: 0
; COMPUTE_PGM_RSRC2:TGID_X_EN: 1
; COMPUTE_PGM_RSRC2:TGID_Y_EN: 0
; COMPUTE_PGM_RSRC2:TGID_Z_EN: 0
; COMPUTE_PGM_RSRC2:TIDIG_COMP_CNT: 0
	.text
	.p2alignl 6, 3214868480
	.fill 48, 4, 3214868480
	.type	__hip_cuid_adf07b176bdae54f,@object ; @__hip_cuid_adf07b176bdae54f
	.section	.bss,"aw",@nobits
	.globl	__hip_cuid_adf07b176bdae54f
__hip_cuid_adf07b176bdae54f:
	.byte	0                               ; 0x0
	.size	__hip_cuid_adf07b176bdae54f, 1

	.ident	"AMD clang version 19.0.0git (https://github.com/RadeonOpenCompute/llvm-project roc-6.4.0 25133 c7fe45cf4b819c5991fe208aaa96edf142730f1d)"
	.section	".note.GNU-stack","",@progbits
	.addrsig
	.addrsig_sym __hip_cuid_adf07b176bdae54f
	.amdgpu_metadata
---
amdhsa.kernels:
  - .args:
      - .actual_access:  read_only
        .address_space:  global
        .offset:         0
        .size:           8
        .value_kind:     global_buffer
      - .offset:         8
        .size:           8
        .value_kind:     by_value
      - .actual_access:  read_only
        .address_space:  global
        .offset:         16
        .size:           8
        .value_kind:     global_buffer
      - .actual_access:  read_only
        .address_space:  global
        .offset:         24
        .size:           8
        .value_kind:     global_buffer
      - .actual_access:  read_only
        .address_space:  global
        .offset:         32
        .size:           8
        .value_kind:     global_buffer
      - .offset:         40
        .size:           8
        .value_kind:     by_value
      - .actual_access:  read_only
        .address_space:  global
        .offset:         48
        .size:           8
        .value_kind:     global_buffer
      - .actual_access:  read_only
        .address_space:  global
        .offset:         56
        .size:           8
        .value_kind:     global_buffer
      - .offset:         64
        .size:           4
        .value_kind:     by_value
      - .actual_access:  read_only
        .address_space:  global
        .offset:         72
        .size:           8
        .value_kind:     global_buffer
      - .actual_access:  read_only
        .address_space:  global
        .offset:         80
        .size:           8
        .value_kind:     global_buffer
      - .actual_access:  read_only
        .address_space:  global
        .offset:         88
        .size:           8
        .value_kind:     global_buffer
      - .actual_access:  write_only
        .address_space:  global
        .offset:         96
        .size:           8
        .value_kind:     global_buffer
    .group_segment_fixed_size: 0
    .kernarg_segment_align: 8
    .kernarg_segment_size: 104
    .language:       OpenCL C
    .language_version:
      - 2
      - 0
    .max_flat_workgroup_size: 200
    .name:           fft_rtc_fwd_len4000_factors_10_10_10_4_wgs_200_tpt_200_halfLds_half_op_CI_CI_unitstride_sbrr_R2C_dirReg
    .private_segment_fixed_size: 0
    .sgpr_count:     29
    .sgpr_spill_count: 0
    .symbol:         fft_rtc_fwd_len4000_factors_10_10_10_4_wgs_200_tpt_200_halfLds_half_op_CI_CI_unitstride_sbrr_R2C_dirReg.kd
    .uniform_work_group_size: 1
    .uses_dynamic_stack: false
    .vgpr_count:     93
    .vgpr_spill_count: 0
    .wavefront_size: 32
    .workgroup_processor_mode: 1
amdhsa.target:   amdgcn-amd-amdhsa--gfx1030
amdhsa.version:
  - 1
  - 2
...

	.end_amdgpu_metadata
